;; amdgpu-corpus repo=ROCm/rocFFT kind=compiled arch=gfx950 opt=O3
	.text
	.amdgcn_target "amdgcn-amd-amdhsa--gfx950"
	.amdhsa_code_object_version 6
	.protected	fft_rtc_fwd_len1530_factors_17_3_6_5_wgs_102_tpt_102_halfLds_sp_ip_CI_unitstride_sbrr_C2R_dirReg ; -- Begin function fft_rtc_fwd_len1530_factors_17_3_6_5_wgs_102_tpt_102_halfLds_sp_ip_CI_unitstride_sbrr_C2R_dirReg
	.globl	fft_rtc_fwd_len1530_factors_17_3_6_5_wgs_102_tpt_102_halfLds_sp_ip_CI_unitstride_sbrr_C2R_dirReg
	.p2align	8
	.type	fft_rtc_fwd_len1530_factors_17_3_6_5_wgs_102_tpt_102_halfLds_sp_ip_CI_unitstride_sbrr_C2R_dirReg,@function
fft_rtc_fwd_len1530_factors_17_3_6_5_wgs_102_tpt_102_halfLds_sp_ip_CI_unitstride_sbrr_C2R_dirReg: ; @fft_rtc_fwd_len1530_factors_17_3_6_5_wgs_102_tpt_102_halfLds_sp_ip_CI_unitstride_sbrr_C2R_dirReg
; %bb.0:
	s_load_dwordx2 s[4:5], s[0:1], 0x50
	s_load_dwordx4 s[8:11], s[0:1], 0x0
	s_load_dwordx2 s[6:7], s[0:1], 0x18
	v_mul_u32_u24_e32 v1, 0x283, v0
	v_add_u32_sdwa v6, s2, v1 dst_sel:DWORD dst_unused:UNUSED_PAD src0_sel:DWORD src1_sel:WORD_1
	v_mov_b32_e32 v4, 0
	s_waitcnt lgkmcnt(0)
	v_cmp_lt_u64_e64 s[2:3], s[10:11], 2
	v_mov_b32_e32 v7, v4
	s_and_b64 vcc, exec, s[2:3]
	v_mov_b64_e32 v[2:3], 0
	s_cbranch_vccnz .LBB0_8
; %bb.1:
	s_load_dwordx2 s[2:3], s[0:1], 0x10
	s_add_u32 s12, s6, 8
	s_addc_u32 s13, s7, 0
	s_mov_b64 s[14:15], 1
	v_mov_b64_e32 v[2:3], 0
	s_waitcnt lgkmcnt(0)
	s_add_u32 s16, s2, 8
	s_addc_u32 s17, s3, 0
.LBB0_2:                                ; =>This Inner Loop Header: Depth=1
	s_load_dwordx2 s[18:19], s[16:17], 0x0
                                        ; implicit-def: $vgpr8_vgpr9
	s_waitcnt lgkmcnt(0)
	v_or_b32_e32 v5, s19, v7
	v_cmp_ne_u64_e32 vcc, 0, v[4:5]
	s_and_saveexec_b64 s[2:3], vcc
	s_xor_b64 s[20:21], exec, s[2:3]
	s_cbranch_execz .LBB0_4
; %bb.3:                                ;   in Loop: Header=BB0_2 Depth=1
	v_cvt_f32_u32_e32 v1, s18
	v_cvt_f32_u32_e32 v5, s19
	s_sub_u32 s2, 0, s18
	s_subb_u32 s3, 0, s19
	v_fmac_f32_e32 v1, 0x4f800000, v5
	v_rcp_f32_e32 v1, v1
	s_nop 0
	v_mul_f32_e32 v1, 0x5f7ffffc, v1
	v_mul_f32_e32 v5, 0x2f800000, v1
	v_trunc_f32_e32 v5, v5
	v_fmac_f32_e32 v1, 0xcf800000, v5
	v_cvt_u32_f32_e32 v5, v5
	v_cvt_u32_f32_e32 v1, v1
	v_mul_lo_u32 v8, s2, v5
	v_mul_hi_u32 v10, s2, v1
	v_mul_lo_u32 v9, s3, v1
	v_add_u32_e32 v10, v10, v8
	v_mul_lo_u32 v12, s2, v1
	v_add_u32_e32 v13, v10, v9
	v_mul_hi_u32 v8, v1, v12
	v_mul_hi_u32 v11, v1, v13
	v_mul_lo_u32 v10, v1, v13
	v_mov_b32_e32 v9, v4
	v_lshl_add_u64 v[8:9], v[8:9], 0, v[10:11]
	v_mul_hi_u32 v11, v5, v12
	v_mul_lo_u32 v12, v5, v12
	v_add_co_u32_e32 v8, vcc, v8, v12
	v_mul_hi_u32 v10, v5, v13
	s_nop 0
	v_addc_co_u32_e32 v8, vcc, v9, v11, vcc
	v_mov_b32_e32 v9, v4
	s_nop 0
	v_addc_co_u32_e32 v11, vcc, 0, v10, vcc
	v_mul_lo_u32 v10, v5, v13
	v_lshl_add_u64 v[8:9], v[8:9], 0, v[10:11]
	v_add_co_u32_e32 v1, vcc, v1, v8
	v_mul_lo_u32 v10, s2, v1
	s_nop 0
	v_addc_co_u32_e32 v5, vcc, v5, v9, vcc
	v_mul_lo_u32 v8, s2, v5
	v_mul_hi_u32 v9, s2, v1
	v_add_u32_e32 v8, v9, v8
	v_mul_lo_u32 v9, s3, v1
	v_add_u32_e32 v12, v8, v9
	v_mul_hi_u32 v14, v5, v10
	v_mul_lo_u32 v15, v5, v10
	v_mul_hi_u32 v9, v1, v12
	v_mul_lo_u32 v8, v1, v12
	v_mul_hi_u32 v10, v1, v10
	v_mov_b32_e32 v11, v4
	v_lshl_add_u64 v[8:9], v[10:11], 0, v[8:9]
	v_add_co_u32_e32 v8, vcc, v8, v15
	v_mul_hi_u32 v13, v5, v12
	s_nop 0
	v_addc_co_u32_e32 v8, vcc, v9, v14, vcc
	v_mul_lo_u32 v10, v5, v12
	s_nop 0
	v_addc_co_u32_e32 v11, vcc, 0, v13, vcc
	v_mov_b32_e32 v9, v4
	v_lshl_add_u64 v[8:9], v[8:9], 0, v[10:11]
	v_add_co_u32_e32 v1, vcc, v1, v8
	v_mul_hi_u32 v10, v6, v1
	s_nop 0
	v_addc_co_u32_e32 v5, vcc, v5, v9, vcc
	v_mad_u64_u32 v[8:9], s[2:3], v6, v5, 0
	v_mov_b32_e32 v11, v4
	v_lshl_add_u64 v[8:9], v[10:11], 0, v[8:9]
	v_mad_u64_u32 v[12:13], s[2:3], v7, v1, 0
	v_add_co_u32_e32 v1, vcc, v8, v12
	v_mad_u64_u32 v[10:11], s[2:3], v7, v5, 0
	s_nop 0
	v_addc_co_u32_e32 v8, vcc, v9, v13, vcc
	v_mov_b32_e32 v9, v4
	s_nop 0
	v_addc_co_u32_e32 v11, vcc, 0, v11, vcc
	v_lshl_add_u64 v[8:9], v[8:9], 0, v[10:11]
	v_mul_lo_u32 v1, s19, v8
	v_mul_lo_u32 v5, s18, v9
	v_mad_u64_u32 v[10:11], s[2:3], s18, v8, 0
	v_add3_u32 v1, v11, v5, v1
	v_sub_u32_e32 v5, v7, v1
	v_mov_b32_e32 v11, s19
	v_sub_co_u32_e32 v14, vcc, v6, v10
	v_lshl_add_u64 v[12:13], v[8:9], 0, 1
	s_nop 0
	v_subb_co_u32_e64 v5, s[2:3], v5, v11, vcc
	v_subrev_co_u32_e64 v10, s[2:3], s18, v14
	v_subb_co_u32_e32 v1, vcc, v7, v1, vcc
	s_nop 0
	v_subbrev_co_u32_e64 v5, s[2:3], 0, v5, s[2:3]
	v_cmp_le_u32_e64 s[2:3], s19, v5
	v_cmp_le_u32_e32 vcc, s19, v1
	s_nop 0
	v_cndmask_b32_e64 v11, 0, -1, s[2:3]
	v_cmp_le_u32_e64 s[2:3], s18, v10
	s_nop 1
	v_cndmask_b32_e64 v10, 0, -1, s[2:3]
	v_cmp_eq_u32_e64 s[2:3], s19, v5
	s_nop 1
	v_cndmask_b32_e64 v5, v11, v10, s[2:3]
	v_lshl_add_u64 v[10:11], v[8:9], 0, 2
	v_cmp_ne_u32_e64 s[2:3], 0, v5
	s_nop 1
	v_cndmask_b32_e64 v5, v13, v11, s[2:3]
	v_cndmask_b32_e64 v11, 0, -1, vcc
	v_cmp_le_u32_e32 vcc, s18, v14
	s_nop 1
	v_cndmask_b32_e64 v13, 0, -1, vcc
	v_cmp_eq_u32_e32 vcc, s19, v1
	s_nop 1
	v_cndmask_b32_e32 v1, v11, v13, vcc
	v_cmp_ne_u32_e32 vcc, 0, v1
	v_cndmask_b32_e64 v1, v12, v10, s[2:3]
	s_nop 0
	v_cndmask_b32_e32 v9, v9, v5, vcc
	v_cndmask_b32_e32 v8, v8, v1, vcc
.LBB0_4:                                ;   in Loop: Header=BB0_2 Depth=1
	s_andn2_saveexec_b64 s[2:3], s[20:21]
	s_cbranch_execz .LBB0_6
; %bb.5:                                ;   in Loop: Header=BB0_2 Depth=1
	v_cvt_f32_u32_e32 v1, s18
	s_sub_i32 s20, 0, s18
	v_rcp_iflag_f32_e32 v1, v1
	s_nop 0
	v_mul_f32_e32 v1, 0x4f7ffffe, v1
	v_cvt_u32_f32_e32 v1, v1
	v_mul_lo_u32 v5, s20, v1
	v_mul_hi_u32 v5, v1, v5
	v_add_u32_e32 v1, v1, v5
	v_mul_hi_u32 v1, v6, v1
	v_mul_lo_u32 v5, v1, s18
	v_sub_u32_e32 v5, v6, v5
	v_add_u32_e32 v8, 1, v1
	v_subrev_u32_e32 v9, s18, v5
	v_cmp_le_u32_e32 vcc, s18, v5
	s_nop 1
	v_cndmask_b32_e32 v5, v5, v9, vcc
	v_cndmask_b32_e32 v1, v1, v8, vcc
	v_add_u32_e32 v8, 1, v1
	v_cmp_le_u32_e32 vcc, s18, v5
	v_mov_b32_e32 v9, v4
	s_nop 0
	v_cndmask_b32_e32 v8, v1, v8, vcc
.LBB0_6:                                ;   in Loop: Header=BB0_2 Depth=1
	s_or_b64 exec, exec, s[2:3]
	v_mad_u64_u32 v[10:11], s[2:3], v8, s18, 0
	s_load_dwordx2 s[2:3], s[12:13], 0x0
	v_mul_lo_u32 v1, v9, s18
	v_mul_lo_u32 v5, v8, s19
	v_add3_u32 v1, v11, v5, v1
	v_sub_co_u32_e32 v5, vcc, v6, v10
	s_add_u32 s14, s14, 1
	s_nop 0
	v_subb_co_u32_e32 v1, vcc, v7, v1, vcc
	s_addc_u32 s15, s15, 0
	s_waitcnt lgkmcnt(0)
	v_mul_lo_u32 v1, s2, v1
	v_mul_lo_u32 v6, s3, v5
	v_mad_u64_u32 v[2:3], s[2:3], s2, v5, v[2:3]
	s_add_u32 s12, s12, 8
	v_add3_u32 v3, v6, v3, v1
	s_addc_u32 s13, s13, 0
	v_mov_b64_e32 v[6:7], s[10:11]
	s_add_u32 s16, s16, 8
	v_cmp_ge_u64_e32 vcc, s[14:15], v[6:7]
	s_addc_u32 s17, s17, 0
	s_cbranch_vccnz .LBB0_9
; %bb.7:                                ;   in Loop: Header=BB0_2 Depth=1
	v_mov_b64_e32 v[6:7], v[8:9]
	s_branch .LBB0_2
.LBB0_8:
	v_mov_b64_e32 v[8:9], v[6:7]
.LBB0_9:
	s_lshl_b64 s[2:3], s[10:11], 3
	s_add_u32 s2, s6, s2
	s_addc_u32 s3, s7, s3
	s_load_dwordx2 s[6:7], s[2:3], 0x0
	s_load_dwordx2 s[10:11], s[0:1], 0x20
	s_mov_b32 s2, 0x2828283
	s_waitcnt lgkmcnt(0)
	v_mul_lo_u32 v1, s6, v9
	v_mul_lo_u32 v4, s7, v8
	v_mad_u64_u32 v[2:3], s[0:1], s6, v8, v[2:3]
	v_add3_u32 v3, v4, v3, v1
	v_mul_hi_u32 v1, v0, s2
	v_mul_u32_u24_e32 v1, 0x66, v1
	v_cmp_gt_u64_e64 s[0:1], s[10:11], v[8:9]
	v_sub_u32_e32 v36, v0, v1
	v_lshl_add_u64 v[38:39], v[2:3], 3, s[4:5]
	s_and_saveexec_b64 s[2:3], s[0:1]
	s_cbranch_execz .LBB0_13
; %bb.10:
	v_mov_b32_e32 v37, 0
	v_lshl_add_u64 v[0:1], v[36:37], 3, v[38:39]
	s_movk_i32 s4, 0x1000
	v_add_co_u32_e32 v10, vcc, s4, v0
	global_load_dwordx2 v[2:3], v[0:1], off
	global_load_dwordx2 v[4:5], v[0:1], off offset:816
	global_load_dwordx2 v[6:7], v[0:1], off offset:1632
	;; [unrolled: 1-line block ×3, first 2 shown]
	v_addc_co_u32_e32 v11, vcc, 0, v1, vcc
	global_load_dwordx2 v[12:13], v[0:1], off offset:3264
	global_load_dwordx2 v[14:15], v[0:1], off offset:4080
	;; [unrolled: 1-line block ×4, first 2 shown]
	v_add_co_u32_e32 v0, vcc, 0x2000, v0
	s_movk_i32 s4, 0x65
	s_nop 0
	v_addc_co_u32_e32 v1, vcc, 0, v1, vcc
	global_load_dwordx2 v[20:21], v[10:11], off offset:2432
	global_load_dwordx2 v[22:23], v[10:11], off offset:3248
	;; [unrolled: 1-line block ×7, first 2 shown]
	v_lshl_add_u32 v0, v36, 3, 0
	v_cmp_eq_u32_e32 vcc, s4, v36
	v_add_u32_e32 v1, 0x400, v0
	v_add_u32_e32 v10, 0x800, v0
	;; [unrolled: 1-line block ×6, first 2 shown]
	s_waitcnt vmcnt(13)
	ds_write2_b64 v0, v[2:3], v[4:5] offset1:102
	s_waitcnt vmcnt(11)
	ds_write2_b64 v1, v[6:7], v[8:9] offset0:76 offset1:178
	s_waitcnt vmcnt(9)
	ds_write2_b64 v10, v[12:13], v[14:15] offset0:152 offset1:254
	;; [unrolled: 2-line block ×6, first 2 shown]
	s_waitcnt vmcnt(0)
	ds_write_b64 v0, v[32:33] offset:11424
	s_and_saveexec_b64 s[4:5], vcc
	s_cbranch_execz .LBB0_12
; %bb.11:
	v_add_co_u32_e32 v0, vcc, 0x2000, v38
	v_mov_b32_e32 v36, 0x65
	s_nop 0
	v_addc_co_u32_e32 v1, vcc, 0, v39, vcc
	global_load_dwordx2 v[0:1], v[0:1], off offset:4048
	s_waitcnt vmcnt(0)
	ds_write_b64 v37, v[0:1] offset:12240
.LBB0_12:
	s_or_b64 exec, exec, s[4:5]
.LBB0_13:
	s_or_b64 exec, exec, s[2:3]
	v_lshlrev_b32_e32 v0, 3, v36
	v_add_u32_e32 v142, 0, v0
	s_waitcnt lgkmcnt(0)
	s_barrier
	v_sub_u32_e32 v4, 0, v0
	ds_read_b32 v0, v142
	ds_read_b32 v1, v4 offset:12240
	s_add_u32 s2, s8, 0x2f48
	s_addc_u32 s3, s9, 0
	v_cmp_ne_u32_e32 vcc, 0, v36
	s_waitcnt lgkmcnt(0)
	v_add_f32_e32 v2, v1, v0
	v_sub_f32_e32 v3, v0, v1
                                        ; implicit-def: $vgpr0_vgpr1
	s_and_saveexec_b64 s[4:5], vcc
	s_xor_b64 s[4:5], exec, s[4:5]
	s_cbranch_execz .LBB0_15
; %bb.14:
	v_mov_b32_e32 v37, 0
	v_lshl_add_u64 v[0:1], v[36:37], 3, s[2:3]
	global_load_dwordx2 v[6:7], v[0:1], off
	ds_read_b32 v5, v4 offset:12244
	ds_read_b32 v11, v142 offset:4
	v_mov_b32_e32 v8, v3
	v_mov_b32_e32 v10, v2
	v_mov_b32_e32 v13, v3
	v_mov_b64_e32 v[0:1], v[36:37]
	s_waitcnt lgkmcnt(0)
	v_add_f32_e32 v9, v5, v11
	v_sub_f32_e32 v11, v11, v5
	v_mov_b32_e32 v12, v9
	s_waitcnt vmcnt(0)
	v_pk_mul_f32 v[14:15], v[8:9], v[6:7] op_sel:[0,1]
	v_pk_fma_f32 v[8:9], v[8:9], v[6:7], v[10:11] op_sel:[0,1,0]
	v_mov_b32_e32 v3, v15
	v_mov_b32_e32 v15, v11
	v_pk_fma_f32 v[16:17], v[6:7], v[12:13], v[8:9] neg_lo:[1,0,0] neg_hi:[1,0,0]
	v_pk_fma_f32 v[8:9], v[6:7], v[12:13], v[8:9] op_sel_hi:[0,1,1]
	v_pk_add_f32 v[2:3], v[2:3], v[14:15] neg_lo:[0,1] neg_hi:[0,1]
	v_mov_b32_e32 v17, v9
	v_pk_fma_f32 v[2:3], v[6:7], v[12:13], v[2:3] op_sel_hi:[0,1,1]
	ds_write_b64 v4, v[2:3] offset:12240
	v_mov_b64_e32 v[2:3], v[16:17]
.LBB0_15:
	s_andn2_saveexec_b64 s[4:5], s[4:5]
	s_cbranch_execz .LBB0_17
; %bb.16:
	v_mov_b32_e32 v5, 0
	ds_read_b64 v[0:1], v5 offset:6120
	s_mov_b32 s6, 2.0
	s_mov_b32 s7, -2.0
	s_waitcnt lgkmcnt(0)
	v_pk_mul_f32 v[0:1], v[0:1], s[6:7]
	ds_write_b64 v5, v[0:1] offset:6120
	v_mov_b64_e32 v[0:1], 0
.LBB0_17:
	s_or_b64 exec, exec, s[4:5]
	v_lshl_add_u64 v[0:1], v[0:1], 3, s[2:3]
	global_load_dwordx2 v[6:7], v[0:1], off offset:816
	v_add_u32_e32 v40, 0xcc, v36
	v_mov_b32_e32 v41, 0
	v_lshl_add_u64 v[8:9], v[40:41], 3, s[2:3]
	global_load_dwordx2 v[8:9], v[8:9], off
	v_add_u32_e32 v42, 0x132, v36
	v_mov_b32_e32 v43, v41
	v_lshl_add_u64 v[10:11], v[42:43], 3, s[2:3]
	global_load_dwordx2 v[12:13], v[10:11], off
	global_load_dwordx2 v[14:15], v[0:1], off offset:3264
	ds_write_b64 v142, v[2:3]
	ds_read_b64 v[2:3], v4 offset:11424
	ds_read_b64 v[10:11], v142 offset:816
	global_load_dwordx2 v[16:17], v[0:1], off offset:4080
	s_movk_i32 s2, 0x1000
	v_lshl_add_u32 v37, v40, 3, 0
	v_lshl_add_u32 v41, v42, 3, 0
	s_waitcnt lgkmcnt(0)
	v_pk_add_f32 v[18:19], v[10:11], v[2:3]
	v_pk_add_f32 v[2:3], v[10:11], v[2:3] neg_lo:[0,1] neg_hi:[0,1]
	v_mov_b32_e32 v10, v19
	v_mov_b32_e32 v11, v2
	;; [unrolled: 1-line block ×3, first 2 shown]
	v_cmp_lt_u32_e64 s[4:5], 50, v36
	s_waitcnt vmcnt(4)
	v_pk_mul_f32 v[20:21], v[10:11], v[6:7] op_sel:[0,1]
	s_nop 0
	v_pk_add_f32 v[22:23], v[18:19], v[20:21] op_sel:[0,1] op_sel_hi:[1,0]
	v_mov_b32_e32 v19, v20
	v_mov_b32_e32 v2, v21
	v_pk_fma_f32 v[20:21], v[6:7], v[10:11], v[22:23] neg_lo:[1,0,0] neg_hi:[1,0,0]
	v_pk_fma_f32 v[22:23], v[6:7], v[10:11], v[22:23] op_sel_hi:[0,1,1]
	v_pk_add_f32 v[2:3], v[18:19], v[2:3] neg_lo:[0,1] neg_hi:[0,1]
	v_mov_b32_e32 v21, v23
	v_pk_fma_f32 v[2:3], v[6:7], v[10:11], v[2:3] op_sel_hi:[0,1,1]
	v_add_co_u32_e32 v10, vcc, s2, v0
	ds_write_b64 v142, v[20:21] offset:816
	ds_write_b64 v4, v[2:3] offset:11424
	v_addc_co_u32_e32 v11, vcc, 0, v1, vcc
	ds_read_b64 v[2:3], v4 offset:10608
	ds_read_b64 v[6:7], v37
	global_load_dwordx2 v[10:11], v[10:11], off offset:800
	v_cmp_gt_u32_e64 s[2:3], 51, v36
	s_waitcnt lgkmcnt(0)
	v_pk_add_f32 v[18:19], v[6:7], v[2:3]
	v_pk_add_f32 v[2:3], v[6:7], v[2:3] neg_lo:[0,1] neg_hi:[0,1]
	v_mov_b32_e32 v6, v19
	v_mov_b32_e32 v7, v2
	;; [unrolled: 1-line block ×3, first 2 shown]
	s_waitcnt vmcnt(4)
	v_pk_mul_f32 v[20:21], v[6:7], v[8:9] op_sel:[0,1]
	s_nop 0
	v_pk_add_f32 v[22:23], v[18:19], v[20:21] op_sel:[0,1] op_sel_hi:[1,0]
	v_mov_b32_e32 v19, v20
	v_mov_b32_e32 v2, v21
	v_pk_fma_f32 v[20:21], v[8:9], v[6:7], v[22:23] neg_lo:[1,0,0] neg_hi:[1,0,0]
	v_pk_fma_f32 v[22:23], v[8:9], v[6:7], v[22:23] op_sel_hi:[0,1,1]
	v_pk_add_f32 v[2:3], v[18:19], v[2:3] neg_lo:[0,1] neg_hi:[0,1]
	v_mov_b32_e32 v21, v23
	v_pk_fma_f32 v[2:3], v[8:9], v[6:7], v[2:3] op_sel_hi:[0,1,1]
	ds_write_b64 v37, v[20:21]
	ds_write_b64 v4, v[2:3] offset:10608
	ds_read_b64 v[2:3], v4 offset:9792
	ds_read_b64 v[6:7], v41
	s_waitcnt lgkmcnt(0)
	v_pk_add_f32 v[8:9], v[6:7], v[2:3]
	v_pk_add_f32 v[2:3], v[6:7], v[2:3] neg_lo:[0,1] neg_hi:[0,1]
	v_mov_b32_e32 v6, v9
	v_mov_b32_e32 v7, v2
	v_mov_b32_e32 v9, v3
	s_waitcnt vmcnt(3)
	v_pk_mul_f32 v[18:19], v[6:7], v[12:13] op_sel:[0,1]
	s_nop 0
	v_pk_add_f32 v[20:21], v[8:9], v[18:19] op_sel:[0,1] op_sel_hi:[1,0]
	v_mov_b32_e32 v9, v18
	v_mov_b32_e32 v2, v19
	v_pk_fma_f32 v[18:19], v[12:13], v[6:7], v[20:21] neg_lo:[1,0,0] neg_hi:[1,0,0]
	v_pk_fma_f32 v[20:21], v[12:13], v[6:7], v[20:21] op_sel_hi:[0,1,1]
	v_pk_add_f32 v[2:3], v[8:9], v[2:3] neg_lo:[0,1] neg_hi:[0,1]
	v_mov_b32_e32 v19, v21
	v_pk_fma_f32 v[2:3], v[12:13], v[6:7], v[2:3] op_sel_hi:[0,1,1]
	ds_write_b64 v41, v[18:19]
	ds_write_b64 v4, v[2:3] offset:9792
	ds_read_b64 v[2:3], v4 offset:8976
	ds_read_b64 v[6:7], v142 offset:3264
	s_waitcnt lgkmcnt(0)
	v_pk_add_f32 v[8:9], v[6:7], v[2:3]
	v_pk_add_f32 v[2:3], v[6:7], v[2:3] neg_lo:[0,1] neg_hi:[0,1]
	v_mov_b32_e32 v6, v9
	v_mov_b32_e32 v7, v2
	v_mov_b32_e32 v9, v3
	s_waitcnt vmcnt(2)
	v_pk_mul_f32 v[12:13], v[6:7], v[14:15] op_sel:[0,1]
	s_nop 0
	v_pk_add_f32 v[18:19], v[8:9], v[12:13] op_sel:[0,1] op_sel_hi:[1,0]
	v_mov_b32_e32 v9, v12
	v_mov_b32_e32 v2, v13
	v_pk_fma_f32 v[12:13], v[14:15], v[6:7], v[18:19] neg_lo:[1,0,0] neg_hi:[1,0,0]
	v_pk_fma_f32 v[18:19], v[14:15], v[6:7], v[18:19] op_sel_hi:[0,1,1]
	v_pk_add_f32 v[2:3], v[8:9], v[2:3] neg_lo:[0,1] neg_hi:[0,1]
	v_mov_b32_e32 v13, v19
	v_pk_fma_f32 v[2:3], v[14:15], v[6:7], v[2:3] op_sel_hi:[0,1,1]
	ds_write_b64 v142, v[12:13] offset:3264
	ds_write_b64 v4, v[2:3] offset:8976
	ds_read_b64 v[2:3], v4 offset:8160
	ds_read_b64 v[6:7], v142 offset:4080
	s_waitcnt lgkmcnt(0)
	v_pk_add_f32 v[8:9], v[6:7], v[2:3]
	v_pk_add_f32 v[2:3], v[6:7], v[2:3] neg_lo:[0,1] neg_hi:[0,1]
	v_mov_b32_e32 v6, v9
	v_mov_b32_e32 v7, v2
	v_mov_b32_e32 v9, v3
	s_waitcnt vmcnt(1)
	v_pk_mul_f32 v[12:13], v[6:7], v[16:17] op_sel:[0,1]
	s_nop 0
	v_pk_add_f32 v[14:15], v[8:9], v[12:13] op_sel:[0,1] op_sel_hi:[1,0]
	v_mov_b32_e32 v9, v12
	v_mov_b32_e32 v2, v13
	v_pk_fma_f32 v[12:13], v[16:17], v[6:7], v[14:15] neg_lo:[1,0,0] neg_hi:[1,0,0]
	v_pk_fma_f32 v[14:15], v[16:17], v[6:7], v[14:15] op_sel_hi:[0,1,1]
	v_pk_add_f32 v[2:3], v[8:9], v[2:3] neg_lo:[0,1] neg_hi:[0,1]
	v_mov_b32_e32 v13, v15
	v_pk_fma_f32 v[2:3], v[16:17], v[6:7], v[2:3] op_sel_hi:[0,1,1]
	ds_write_b64 v142, v[12:13] offset:4080
	;; [unrolled: 21-line block ×3, first 2 shown]
	ds_write_b64 v4, v[2:3] offset:7344
	s_and_saveexec_b64 s[6:7], s[2:3]
	s_cbranch_execz .LBB0_19
; %bb.18:
	v_add_co_u32_e32 v0, vcc, 0x1000, v0
	s_nop 1
	v_addc_co_u32_e32 v1, vcc, 0, v1, vcc
	global_load_dwordx2 v[0:1], v[0:1], off offset:1616
	ds_read_b64 v[2:3], v4 offset:6528
	ds_read_b64 v[6:7], v142 offset:5712
	s_waitcnt lgkmcnt(0)
	v_pk_add_f32 v[8:9], v[6:7], v[2:3]
	v_pk_add_f32 v[2:3], v[6:7], v[2:3] neg_lo:[0,1] neg_hi:[0,1]
	v_mov_b32_e32 v6, v9
	v_mov_b32_e32 v7, v2
	;; [unrolled: 1-line block ×3, first 2 shown]
	s_waitcnt vmcnt(0)
	v_pk_mul_f32 v[10:11], v[6:7], v[0:1] op_sel:[0,1]
	s_nop 0
	v_pk_add_f32 v[12:13], v[8:9], v[10:11] op_sel:[0,1] op_sel_hi:[1,0]
	v_mov_b32_e32 v9, v10
	v_mov_b32_e32 v2, v11
	v_pk_fma_f32 v[10:11], v[0:1], v[6:7], v[12:13] neg_lo:[1,0,0] neg_hi:[1,0,0]
	v_pk_fma_f32 v[12:13], v[0:1], v[6:7], v[12:13] op_sel_hi:[0,1,1]
	v_pk_add_f32 v[2:3], v[8:9], v[2:3] neg_lo:[0,1] neg_hi:[0,1]
	v_mov_b32_e32 v11, v13
	v_pk_fma_f32 v[0:1], v[0:1], v[6:7], v[2:3] op_sel_hi:[0,1,1]
	ds_write_b64 v142, v[10:11] offset:5712
	ds_write_b64 v4, v[0:1] offset:6528
.LBB0_19:
	s_or_b64 exec, exec, s[6:7]
	s_waitcnt lgkmcnt(0)
	s_barrier
	s_barrier
	ds_read2_b64 v[4:7], v142 offset1:90
	ds_read_b64 v[72:73], v142 offset:11520
	v_add_u32_e32 v43, 0x400, v142
	v_add_u32_e32 v143, 0x2400, v142
	ds_read2_b64 v[16:19], v43 offset0:52 offset1:142
	ds_read2_b64 v[12:15], v143 offset0:108 offset1:198
	v_add_u32_e32 v0, 0x2000, v142
	s_waitcnt lgkmcnt(2)
	v_pk_add_f32 v[46:47], v[6:7], v[72:73] neg_lo:[0,1] neg_hi:[0,1]
	s_mov_b32 s22, 0xbeb8f4ab
	v_add_u32_e32 v144, 0x800, v142
	ds_read2_b64 v[8:11], v0 offset0:56 offset1:146
	v_pk_add_f32 v[44:45], v[72:73], v[6:7]
	s_mov_b32 s16, 0x3f6eb680
	v_pk_mul_f32 v[0:1], v[46:47], s[22:23] op_sel_hi:[1,0]
	s_waitcnt lgkmcnt(1)
	v_pk_add_f32 v[50:51], v[16:17], v[14:15] neg_lo:[0,1] neg_hi:[0,1]
	s_mov_b32 s36, 0xbf2c7751
	ds_read2_b64 v[20:23], v144 offset0:104 offset1:194
	v_pk_fma_f32 v[78:79], v[44:45], s[16:17], v[0:1] op_sel:[0,0,1] op_sel_hi:[1,0,0] neg_lo:[0,0,1] neg_hi:[0,0,1]
	v_pk_fma_f32 v[80:81], v[44:45], s[16:17], v[0:1] op_sel:[0,0,1] op_sel_hi:[1,0,0]
	v_pk_add_f32 v[48:49], v[14:15], v[16:17]
	s_mov_b32 s12, 0x3f3d2fb0
	v_pk_mul_f32 v[2:3], v[50:51], s[36:37] op_sel_hi:[1,0]
	v_mov_b32_e32 v0, v80
	v_mov_b32_e32 v1, v79
	v_pk_fma_f32 v[82:83], v[48:49], s[12:13], v[2:3] op_sel:[0,0,1] op_sel_hi:[1,0,0] neg_lo:[0,0,1] neg_hi:[0,0,1]
	v_pk_fma_f32 v[84:85], v[48:49], s[12:13], v[2:3] op_sel:[0,0,1] op_sel_hi:[1,0,0]
	v_pk_add_f32 v[0:1], v[4:5], v[0:1]
	v_mov_b32_e32 v2, v84
	v_mov_b32_e32 v3, v83
	v_pk_add_f32 v[54:55], v[18:19], v[12:13] neg_lo:[0,1] neg_hi:[0,1]
	s_mov_b32 s46, 0xbf65296c
	v_pk_add_f32 v[0:1], v[2:3], v[0:1]
	v_pk_add_f32 v[52:53], v[12:13], v[18:19]
	s_mov_b32 s10, 0x3ee437d1
	v_pk_mul_f32 v[2:3], v[54:55], s[46:47] op_sel_hi:[1,0]
	s_waitcnt lgkmcnt(0)
	v_pk_add_f32 v[58:59], v[20:21], v[10:11] neg_lo:[0,1] neg_hi:[0,1]
	v_pk_fma_f32 v[86:87], v[52:53], s[10:11], v[2:3] op_sel:[0,0,1] op_sel_hi:[1,0,0] neg_lo:[0,0,1] neg_hi:[0,0,1]
	v_pk_fma_f32 v[88:89], v[52:53], s[10:11], v[2:3] op_sel:[0,0,1] op_sel_hi:[1,0,0]
	v_mov_b32_e32 v3, v87
	v_mov_b32_e32 v2, v88
	s_mov_b32 s34, 0xbf7ee86f
	v_pk_add_f32 v[0:1], v[2:3], v[0:1]
	v_pk_add_f32 v[56:57], v[10:11], v[20:21]
	s_mov_b32 s14, 0x3dbcf732
	v_pk_mul_f32 v[2:3], v[58:59], s[34:35] op_sel_hi:[1,0]
	s_mov_b32 s20, 0xbf763a35
	v_pk_fma_f32 v[90:91], v[56:57], s[14:15], v[2:3] op_sel:[0,0,1] op_sel_hi:[1,0,0] neg_lo:[0,0,1] neg_hi:[0,0,1]
	v_pk_fma_f32 v[92:93], v[56:57], s[14:15], v[2:3] op_sel:[0,0,1] op_sel_hi:[1,0,0]
	v_mov_b32_e32 v3, v91
	v_mov_b32_e32 v2, v92
	v_pk_add_f32 v[62:63], v[22:23], v[8:9] neg_lo:[0,1] neg_hi:[0,1]
	v_pk_add_f32 v[0:1], v[2:3], v[0:1]
	s_mov_b32 s18, 0xbe8c1d8e
	v_pk_add_f32 v[60:61], v[8:9], v[22:23]
	v_pk_mul_f32 v[2:3], v[62:63], s[20:21] op_sel_hi:[1,0]
	v_add_u32_e32 v146, 0x1800, v142
	v_pk_fma_f32 v[94:95], v[60:61], s[18:19], v[2:3] op_sel:[0,0,1] op_sel_hi:[1,0,0] neg_lo:[0,0,1] neg_hi:[0,0,1]
	v_pk_fma_f32 v[96:97], v[60:61], s[18:19], v[2:3] op_sel:[0,0,1] op_sel_hi:[1,0,0]
	v_add_u32_e32 v3, 0x1000, v142
	ds_read2_b64 v[28:31], v3 offset0:28 offset1:118
	ds_read2_b64 v[24:27], v146 offset0:132 offset1:222
	v_mov_b32_e32 v2, v96
	v_mov_b32_e32 v3, v95
	s_mov_b32 s26, 0xbf4c4adb
	v_pk_add_f32 v[0:1], v[2:3], v[0:1]
	s_waitcnt lgkmcnt(0)
	v_pk_add_f32 v[66:67], v[28:29], v[26:27] neg_lo:[0,1] neg_hi:[0,1]
	s_mov_b32 s24, 0xbf1a4643
	v_pk_add_f32 v[64:65], v[26:27], v[28:29]
	v_pk_mul_f32 v[2:3], v[66:67], s[26:27] op_sel_hi:[1,0]
	s_mov_b32 s30, 0xbf06c442
	v_pk_fma_f32 v[98:99], v[64:65], s[24:25], v[2:3] op_sel:[0,0,1] op_sel_hi:[1,0,0] neg_lo:[0,0,1] neg_hi:[0,0,1]
	v_pk_fma_f32 v[100:101], v[64:65], s[24:25], v[2:3] op_sel:[0,0,1] op_sel_hi:[1,0,0]
	v_mov_b32_e32 v3, v99
	v_mov_b32_e32 v2, v100
	v_pk_add_f32 v[70:71], v[30:31], v[24:25] neg_lo:[0,1] neg_hi:[0,1]
	v_pk_add_f32 v[0:1], v[2:3], v[0:1]
	s_mov_b32 s28, 0xbf59a7d5
	v_pk_add_f32 v[68:69], v[24:25], v[30:31]
	v_pk_mul_f32 v[2:3], v[70:71], s[30:31] op_sel_hi:[1,0]
	v_pk_mul_f32 v[32:33], v[50:51], s[34:35] op_sel_hi:[1,0]
	v_pk_fma_f32 v[102:103], v[68:69], s[28:29], v[2:3] op_sel:[0,0,1] op_sel_hi:[1,0,0] neg_lo:[0,0,1] neg_hi:[0,0,1]
	v_pk_fma_f32 v[104:105], v[68:69], s[28:29], v[2:3] op_sel:[0,0,1] op_sel_hi:[1,0,0]
	v_mov_b32_e32 v3, v103
	v_mov_b32_e32 v2, v104
	v_pk_add_f32 v[2:3], v[2:3], v[0:1]
	v_pk_mul_f32 v[0:1], v[46:47], s[36:37] op_sel_hi:[1,0]
	v_pk_fma_f32 v[110:111], v[48:49], s[14:15], v[32:33] op_sel:[0,0,1] op_sel_hi:[1,0,0] neg_lo:[0,0,1] neg_hi:[0,0,1]
	v_pk_fma_f32 v[106:107], v[44:45], s[12:13], v[0:1] op_sel:[0,0,1] op_sel_hi:[1,0,0] neg_lo:[0,0,1] neg_hi:[0,0,1]
	v_pk_fma_f32 v[108:109], v[44:45], s[12:13], v[0:1] op_sel:[0,0,1] op_sel_hi:[1,0,0]
	v_mov_b32_e32 v1, v107
	v_mov_b32_e32 v0, v108
	v_pk_fma_f32 v[112:113], v[48:49], s[14:15], v[32:33] op_sel:[0,0,1] op_sel_hi:[1,0,0]
	v_pk_add_f32 v[0:1], v[4:5], v[0:1]
	v_mov_b32_e32 v32, v112
	v_mov_b32_e32 v33, v111
	v_pk_add_f32 v[0:1], v[32:33], v[0:1]
	v_pk_mul_f32 v[32:33], v[54:55], s[26:27] op_sel_hi:[1,0]
	s_mov_b32 s42, 0xbe3c28d5
	v_pk_fma_f32 v[114:115], v[52:53], s[24:25], v[32:33] op_sel:[0,0,1] op_sel_hi:[1,0,0] neg_lo:[0,0,1] neg_hi:[0,0,1]
	v_pk_fma_f32 v[116:117], v[52:53], s[24:25], v[32:33] op_sel:[0,0,1] op_sel_hi:[1,0,0]
	v_mov_b32_e32 v33, v115
	v_mov_b32_e32 v32, v116
	v_pk_add_f32 v[0:1], v[32:33], v[0:1]
	s_mov_b32 s40, 0xbf7ba420
	v_pk_mul_f32 v[32:33], v[58:59], s[42:43] op_sel_hi:[1,0]
	s_mov_b32 s52, 0x3f06c442
	v_pk_fma_f32 v[118:119], v[56:57], s[40:41], v[32:33] op_sel:[0,0,1] op_sel_hi:[1,0,0] neg_lo:[0,0,1] neg_hi:[0,0,1]
	v_pk_fma_f32 v[120:121], v[56:57], s[40:41], v[32:33] op_sel:[0,0,1] op_sel_hi:[1,0,0]
	v_mov_b32_e32 v33, v119
	v_mov_b32_e32 v32, v120
	v_pk_add_f32 v[0:1], v[32:33], v[0:1]
	v_pk_mul_f32 v[32:33], v[62:63], s[52:53] op_sel_hi:[1,0]
	s_mov_b32 s48, 0x3f763a35
	v_pk_fma_f32 v[122:123], v[60:61], s[28:29], v[32:33] op_sel:[0,0,1] op_sel_hi:[1,0,0] neg_lo:[0,0,1] neg_hi:[0,0,1]
	v_pk_fma_f32 v[124:125], v[60:61], s[28:29], v[32:33] op_sel:[0,0,1] op_sel_hi:[1,0,0]
	v_mov_b32_e32 v33, v123
	v_mov_b32_e32 v32, v124
	v_pk_add_f32 v[0:1], v[32:33], v[0:1]
	;; [unrolled: 7-line block ×3, first 2 shown]
	v_pk_mul_f32 v[32:33], v[70:71], s[38:39] op_sel_hi:[1,0]
	v_add_u32_e32 v145, 0x1400, v142
	v_pk_fma_f32 v[130:131], v[68:69], s[10:11], v[32:33] op_sel:[0,0,1] op_sel_hi:[1,0,0] neg_lo:[0,0,1] neg_hi:[0,0,1]
	v_pk_fma_f32 v[132:133], v[68:69], s[10:11], v[32:33] op_sel:[0,0,1] op_sel_hi:[1,0,0]
	ds_read2_b64 v[32:35], v145 offset0:80 offset1:170
	v_mov_b32_e32 v74, v132
	v_mov_b32_e32 v75, v131
	s_mov_b32 s44, 0x3eb8f4ab
	v_pk_add_f32 v[0:1], v[74:75], v[0:1]
	s_waitcnt lgkmcnt(0)
	v_pk_add_f32 v[76:77], v[32:33], v[34:35] neg_lo:[0,1] neg_hi:[0,1]
	v_pk_add_f32 v[74:75], v[34:35], v[32:33]
	v_pk_mul_f32 v[136:137], v[76:77], s[44:45] op_sel_hi:[1,0]
	v_pk_mul_f32 v[140:141], v[76:77], s[42:43] op_sel_hi:[1,0]
	v_pk_fma_f32 v[134:135], v[74:75], s[16:17], v[136:137] op_sel:[0,0,1] op_sel_hi:[1,0,0] neg_lo:[0,0,1] neg_hi:[0,0,1]
	v_pk_fma_f32 v[136:137], v[74:75], s[16:17], v[136:137] op_sel:[0,0,1] op_sel_hi:[1,0,0]
	v_mov_b32_e32 v139, v135
	v_mov_b32_e32 v138, v136
	v_pk_add_f32 v[0:1], v[138:139], v[0:1]
	v_pk_fma_f32 v[138:139], v[74:75], s[40:41], v[140:141] op_sel:[0,0,1] op_sel_hi:[1,0,0] neg_lo:[0,0,1] neg_hi:[0,0,1]
	v_pk_fma_f32 v[140:141], v[74:75], s[40:41], v[140:141] op_sel:[0,0,1] op_sel_hi:[1,0,0]
	v_mov_b32_e32 v149, v139
	v_mov_b32_e32 v148, v140
	s_movk_i32 s6, 0x5a
	v_pk_add_f32 v[2:3], v[148:149], v[2:3]
	v_cmp_gt_u32_e32 vcc, s6, v36
	s_barrier
	s_and_saveexec_b64 s[6:7], vcc
	s_cbranch_execz .LBB0_21
; %bb.20:
	v_pk_add_f32 v[6:7], v[4:5], v[6:7]
	v_mov_b32_e32 v79, v81
	v_pk_add_f32 v[6:7], v[6:7], v[16:17]
	v_mov_b32_e32 v83, v85
	;; [unrolled: 2-line block ×8, first 2 shown]
	v_pk_add_f32 v[6:7], v[6:7], v[34:35]
	v_lshl_add_u32 v147, v36, 7, v142
	v_pk_add_f32 v[6:7], v[6:7], v[24:25]
	v_mov_b32_e32 v107, v109
	v_pk_add_f32 v[6:7], v[6:7], v[26:27]
	v_mov_b32_e32 v111, v113
	v_pk_add_f32 v[6:7], v[6:7], v[8:9]
	v_pk_add_f32 v[8:9], v[4:5], v[78:79]
	v_pk_add_f32 v[6:7], v[6:7], v[10:11]
	v_pk_add_f32 v[8:9], v[82:83], v[8:9]
	v_pk_add_f32 v[6:7], v[6:7], v[12:13]
	v_pk_add_f32 v[8:9], v[86:87], v[8:9]
	v_pk_add_f32 v[6:7], v[6:7], v[14:15]
	v_pk_add_f32 v[8:9], v[90:91], v[8:9]
	v_pk_add_f32 v[6:7], v[6:7], v[72:73]
	v_pk_add_f32 v[8:9], v[94:95], v[8:9]
	v_mov_b32_e32 v115, v117
	v_pk_add_f32 v[8:9], v[98:99], v[8:9]
	v_mov_b32_e32 v119, v121
	v_pk_add_f32 v[8:9], v[102:103], v[8:9]
	;; [unrolled: 2-line block ×3, first 2 shown]
	ds_write2_b64 v147, v[6:7], v[8:9] offset1:1
	v_pk_add_f32 v[6:7], v[4:5], v[106:107]
	v_mov_b32_e32 v127, v129
	v_pk_add_f32 v[6:7], v[110:111], v[6:7]
	v_mov_b32_e32 v131, v133
	;; [unrolled: 2-line block ×3, first 2 shown]
	v_pk_add_f32 v[6:7], v[118:119], v[6:7]
	v_pk_mul_f32 v[8:9], v[46:47], s[46:47] op_sel_hi:[1,0]
	v_pk_add_f32 v[6:7], v[122:123], v[6:7]
	v_pk_mul_f32 v[12:13], v[50:51], s[26:27] op_sel_hi:[1,0]
	v_pk_add_f32 v[6:7], v[126:127], v[6:7]
	s_mov_b32 s50, 0x3e3c28d5
	v_pk_add_f32 v[6:7], v[130:131], v[6:7]
	v_pk_mul_f32 v[84:85], v[50:51], s[42:43] op_sel_hi:[1,0]
	v_pk_add_f32 v[78:79], v[134:135], v[6:7]
	v_pk_fma_f32 v[6:7], v[44:45], s[10:11], v[8:9] op_sel:[0,0,1] op_sel_hi:[1,0,0] neg_lo:[0,0,1] neg_hi:[0,0,1]
	v_pk_fma_f32 v[8:9], v[44:45], s[10:11], v[8:9] op_sel:[0,0,1] op_sel_hi:[1,0,0]
	v_mov_b32_e32 v10, v6
	v_mov_b32_e32 v11, v9
	v_pk_add_f32 v[14:15], v[4:5], v[10:11]
	v_pk_fma_f32 v[10:11], v[48:49], s[24:25], v[12:13] op_sel:[0,0,1] op_sel_hi:[1,0,0] neg_lo:[0,0,1] neg_hi:[0,0,1]
	v_pk_fma_f32 v[12:13], v[48:49], s[24:25], v[12:13] op_sel:[0,0,1] op_sel_hi:[1,0,0]
	v_mov_b32_e32 v16, v10
	v_mov_b32_e32 v17, v13
	v_pk_add_f32 v[18:19], v[16:17], v[14:15]
	v_pk_mul_f32 v[16:17], v[54:55], s[50:51] op_sel_hi:[1,0]
	s_mov_b32 s50, 0x3f2c7751
	v_pk_fma_f32 v[14:15], v[52:53], s[40:41], v[16:17] op_sel:[0,0,1] op_sel_hi:[1,0,0] neg_lo:[0,0,1] neg_hi:[0,0,1]
	v_pk_fma_f32 v[16:17], v[52:53], s[40:41], v[16:17] op_sel:[0,0,1] op_sel_hi:[1,0,0]
	v_mov_b32_e32 v20, v14
	v_mov_b32_e32 v21, v17
	v_pk_add_f32 v[22:23], v[20:21], v[18:19]
	v_pk_mul_f32 v[20:21], v[58:59], s[48:49] op_sel_hi:[1,0]
	s_mov_b32 s54, 0x3f4c4adb
	v_pk_fma_f32 v[18:19], v[56:57], s[18:19], v[20:21] op_sel:[0,0,1] op_sel_hi:[1,0,0] neg_lo:[0,0,1] neg_hi:[0,0,1]
	v_pk_fma_f32 v[20:21], v[56:57], s[18:19], v[20:21] op_sel:[0,0,1] op_sel_hi:[1,0,0]
	v_mov_b32_e32 v24, v18
	v_mov_b32_e32 v25, v21
	v_pk_add_f32 v[26:27], v[24:25], v[22:23]
	v_pk_mul_f32 v[24:25], v[62:63], s[50:51] op_sel_hi:[1,0]
	v_pk_mul_f32 v[116:117], v[50:51], s[52:53] op_sel_hi:[1,0]
	v_pk_fma_f32 v[22:23], v[60:61], s[12:13], v[24:25] op_sel:[0,0,1] op_sel_hi:[1,0,0] neg_lo:[0,0,1] neg_hi:[0,0,1]
	v_pk_fma_f32 v[24:25], v[60:61], s[12:13], v[24:25] op_sel:[0,0,1] op_sel_hi:[1,0,0]
	v_mov_b32_e32 v28, v22
	v_mov_b32_e32 v29, v25
	v_pk_add_f32 v[30:31], v[28:29], v[26:27]
	v_pk_mul_f32 v[28:29], v[66:67], s[22:23] op_sel_hi:[1,0]
	v_pk_mul_f32 v[154:155], v[50:51], s[48:49] op_sel_hi:[1,0]
	v_pk_fma_f32 v[26:27], v[64:65], s[16:17], v[28:29] op_sel:[0,0,1] op_sel_hi:[1,0,0] neg_lo:[0,0,1] neg_hi:[0,0,1]
	v_pk_fma_f32 v[28:29], v[64:65], s[16:17], v[28:29] op_sel:[0,0,1] op_sel_hi:[1,0,0]
	v_mov_b32_e32 v32, v26
	v_mov_b32_e32 v33, v29
	v_pk_add_f32 v[34:35], v[32:33], v[30:31]
	v_pk_mul_f32 v[32:33], v[70:71], s[34:35] op_sel_hi:[1,0]
	v_pk_fma_f32 v[156:157], v[48:49], s[18:19], v[154:155] op_sel:[0,0,1] op_sel_hi:[1,0,0] neg_lo:[0,0,1] neg_hi:[0,0,1]
	v_pk_fma_f32 v[30:31], v[68:69], s[14:15], v[32:33] op_sel:[0,0,1] op_sel_hi:[1,0,0] neg_lo:[0,0,1] neg_hi:[0,0,1]
	v_pk_fma_f32 v[32:33], v[68:69], s[14:15], v[32:33] op_sel:[0,0,1] op_sel_hi:[1,0,0]
	v_mov_b32_e32 v72, v30
	v_mov_b32_e32 v73, v33
	v_pk_add_f32 v[80:81], v[72:73], v[34:35]
	v_pk_mul_f32 v[72:73], v[76:77], s[30:31] op_sel_hi:[1,0]
	v_pk_fma_f32 v[154:155], v[48:49], s[18:19], v[154:155] op_sel:[0,0,1] op_sel_hi:[1,0,0]
	v_pk_fma_f32 v[34:35], v[74:75], s[28:29], v[72:73] op_sel:[0,0,1] op_sel_hi:[1,0,0] neg_lo:[0,0,1] neg_hi:[0,0,1]
	v_pk_fma_f32 v[72:73], v[74:75], s[28:29], v[72:73] op_sel:[0,0,1] op_sel_hi:[1,0,0]
	v_mov_b32_e32 v82, v34
	v_mov_b32_e32 v83, v73
	v_pk_add_f32 v[80:81], v[82:83], v[80:81]
	ds_write2_b64 v147, v[78:79], v[80:81] offset0:2 offset1:3
	v_pk_mul_f32 v[80:81], v[46:47], s[34:35] op_sel_hi:[1,0]
	v_mov_b32_e32 v158, v156
	v_pk_fma_f32 v[78:79], v[44:45], s[14:15], v[80:81] op_sel:[0,0,1] op_sel_hi:[1,0,0] neg_lo:[0,0,1] neg_hi:[0,0,1]
	v_pk_fma_f32 v[80:81], v[44:45], s[14:15], v[80:81] op_sel:[0,0,1] op_sel_hi:[1,0,0]
	v_mov_b32_e32 v82, v78
	v_mov_b32_e32 v83, v81
	v_pk_add_f32 v[86:87], v[4:5], v[82:83]
	v_pk_fma_f32 v[82:83], v[48:49], s[40:41], v[84:85] op_sel:[0,0,1] op_sel_hi:[1,0,0] neg_lo:[0,0,1] neg_hi:[0,0,1]
	v_pk_fma_f32 v[84:85], v[48:49], s[40:41], v[84:85] op_sel:[0,0,1] op_sel_hi:[1,0,0]
	v_mov_b32_e32 v88, v82
	v_mov_b32_e32 v89, v85
	v_pk_add_f32 v[90:91], v[88:89], v[86:87]
	v_pk_mul_f32 v[88:89], v[54:55], s[48:49] op_sel_hi:[1,0]
	v_mov_b32_e32 v159, v155
	v_pk_fma_f32 v[86:87], v[52:53], s[18:19], v[88:89] op_sel:[0,0,1] op_sel_hi:[1,0,0] neg_lo:[0,0,1] neg_hi:[0,0,1]
	v_pk_fma_f32 v[88:89], v[52:53], s[18:19], v[88:89] op_sel:[0,0,1] op_sel_hi:[1,0,0]
	v_mov_b32_e32 v92, v86
	v_mov_b32_e32 v93, v89
	v_pk_add_f32 v[94:95], v[92:93], v[90:91]
	v_pk_mul_f32 v[92:93], v[58:59], s[44:45] op_sel_hi:[1,0]
	v_pk_mul_f32 v[188:189], v[50:51], s[38:39] op_sel_hi:[1,0]
	v_pk_fma_f32 v[90:91], v[56:57], s[16:17], v[92:93] op_sel:[0,0,1] op_sel_hi:[1,0,0] neg_lo:[0,0,1] neg_hi:[0,0,1]
	v_pk_fma_f32 v[92:93], v[56:57], s[16:17], v[92:93] op_sel:[0,0,1] op_sel_hi:[1,0,0]
	v_mov_b32_e32 v96, v90
	v_mov_b32_e32 v97, v93
	v_pk_add_f32 v[98:99], v[96:97], v[94:95]
	v_pk_mul_f32 v[96:97], v[62:63], s[46:47] op_sel_hi:[1,0]
	v_pk_fma_f32 v[190:191], v[48:49], s[10:11], v[188:189] op_sel:[0,0,1] op_sel_hi:[1,0,0] neg_lo:[0,0,1] neg_hi:[0,0,1]
	v_pk_fma_f32 v[94:95], v[60:61], s[10:11], v[96:97] op_sel:[0,0,1] op_sel_hi:[1,0,0] neg_lo:[0,0,1] neg_hi:[0,0,1]
	v_pk_fma_f32 v[96:97], v[60:61], s[10:11], v[96:97] op_sel:[0,0,1] op_sel_hi:[1,0,0]
	v_mov_b32_e32 v100, v94
	v_mov_b32_e32 v101, v97
	v_pk_add_f32 v[102:103], v[100:101], v[98:99]
	v_pk_mul_f32 v[100:101], v[66:67], s[30:31] op_sel_hi:[1,0]
	v_pk_fma_f32 v[188:189], v[48:49], s[10:11], v[188:189] op_sel:[0,0,1] op_sel_hi:[1,0,0]
	v_pk_fma_f32 v[98:99], v[64:65], s[28:29], v[100:101] op_sel:[0,0,1] op_sel_hi:[1,0,0] neg_lo:[0,0,1] neg_hi:[0,0,1]
	v_pk_fma_f32 v[100:101], v[64:65], s[28:29], v[100:101] op_sel:[0,0,1] op_sel_hi:[1,0,0]
	v_mov_b32_e32 v104, v98
	v_mov_b32_e32 v105, v101
	v_pk_add_f32 v[106:107], v[104:105], v[102:103]
	v_pk_mul_f32 v[104:105], v[70:71], s[54:55] op_sel_hi:[1,0]
	v_mov_b32_e32 v192, v190
	v_pk_fma_f32 v[102:103], v[68:69], s[24:25], v[104:105] op_sel:[0,0,1] op_sel_hi:[1,0,0] neg_lo:[0,0,1] neg_hi:[0,0,1]
	v_pk_fma_f32 v[104:105], v[68:69], s[24:25], v[104:105] op_sel:[0,0,1] op_sel_hi:[1,0,0]
	v_mov_b32_e32 v108, v102
	v_mov_b32_e32 v109, v105
	v_pk_add_f32 v[110:111], v[108:109], v[106:107]
	v_pk_mul_f32 v[108:109], v[76:77], s[50:51] op_sel_hi:[1,0]
	v_mov_b32_e32 v193, v189
	;; [unrolled: 7-line block ×3, first 2 shown]
	v_pk_fma_f32 v[110:111], v[44:45], s[18:19], v[112:113] op_sel:[0,0,1] op_sel_hi:[1,0,0] neg_lo:[0,0,1] neg_hi:[0,0,1]
	v_pk_fma_f32 v[112:113], v[44:45], s[18:19], v[112:113] op_sel:[0,0,1] op_sel_hi:[1,0,0]
	v_mov_b32_e32 v114, v110
	v_mov_b32_e32 v115, v113
	v_pk_add_f32 v[118:119], v[4:5], v[114:115]
	v_pk_fma_f32 v[114:115], v[48:49], s[28:29], v[116:117] op_sel:[0,0,1] op_sel_hi:[1,0,0] neg_lo:[0,0,1] neg_hi:[0,0,1]
	v_pk_fma_f32 v[116:117], v[48:49], s[28:29], v[116:117] op_sel:[0,0,1] op_sel_hi:[1,0,0]
	v_mov_b32_e32 v120, v114
	v_mov_b32_e32 v121, v117
	v_pk_add_f32 v[122:123], v[120:121], v[118:119]
	v_pk_mul_f32 v[120:121], v[54:55], s[50:51] op_sel_hi:[1,0]
	v_mov_b32_e32 v155, v157
	v_pk_fma_f32 v[118:119], v[52:53], s[12:13], v[120:121] op_sel:[0,0,1] op_sel_hi:[1,0,0] neg_lo:[0,0,1] neg_hi:[0,0,1]
	v_pk_fma_f32 v[120:121], v[52:53], s[12:13], v[120:121] op_sel:[0,0,1] op_sel_hi:[1,0,0]
	v_mov_b32_e32 v124, v118
	v_mov_b32_e32 v125, v121
	v_pk_add_f32 v[126:127], v[124:125], v[122:123]
	v_pk_mul_f32 v[124:125], v[58:59], s[46:47] op_sel_hi:[1,0]
	s_mov_b32 s46, 0x3f7ee86f
	v_pk_fma_f32 v[122:123], v[56:57], s[10:11], v[124:125] op_sel:[0,0,1] op_sel_hi:[1,0,0] neg_lo:[0,0,1] neg_hi:[0,0,1]
	v_pk_fma_f32 v[124:125], v[56:57], s[10:11], v[124:125] op_sel:[0,0,1] op_sel_hi:[1,0,0]
	v_mov_b32_e32 v128, v122
	v_mov_b32_e32 v129, v125
	v_pk_add_f32 v[130:131], v[128:129], v[126:127]
	v_pk_mul_f32 v[128:129], v[62:63], s[42:43] op_sel_hi:[1,0]
	v_mov_b32_e32 v113, v111
	v_pk_fma_f32 v[126:127], v[60:61], s[40:41], v[128:129] op_sel:[0,0,1] op_sel_hi:[1,0,0] neg_lo:[0,0,1] neg_hi:[0,0,1]
	v_pk_fma_f32 v[128:129], v[60:61], s[40:41], v[128:129] op_sel:[0,0,1] op_sel_hi:[1,0,0]
	v_mov_b32_e32 v132, v126
	v_mov_b32_e32 v133, v129
	v_pk_add_f32 v[134:135], v[132:133], v[130:131]
	v_pk_mul_f32 v[132:133], v[66:67], s[46:47] op_sel_hi:[1,0]
	v_mov_b32_e32 v81, v79
	;; [unrolled: 7-line block ×4, first 2 shown]
	v_pk_fma_f32 v[138:139], v[74:75], s[24:25], v[140:141] op_sel:[0,0,1] op_sel_hi:[1,0,0] neg_lo:[0,0,1] neg_hi:[0,0,1]
	v_pk_fma_f32 v[140:141], v[74:75], s[24:25], v[140:141] op_sel:[0,0,1] op_sel_hi:[1,0,0]
	v_mov_b32_e32 v152, v138
	v_mov_b32_e32 v153, v141
	v_pk_add_f32 v[150:151], v[152:153], v[150:151]
	ds_write2_b64 v147, v[148:149], v[150:151] offset0:4 offset1:5
	v_pk_mul_f32 v[148:149], v[46:47], s[26:27] op_sel_hi:[1,0]
	v_mov_b32_e32 v85, v83
	v_pk_fma_f32 v[150:151], v[44:45], s[24:25], v[148:149] op_sel:[0,0,1] op_sel_hi:[1,0,0] neg_lo:[0,0,1] neg_hi:[0,0,1]
	v_pk_fma_f32 v[148:149], v[44:45], s[24:25], v[148:149] op_sel:[0,0,1] op_sel_hi:[1,0,0]
	v_mov_b32_e32 v152, v150
	v_mov_b32_e32 v153, v149
	v_pk_add_f32 v[152:153], v[4:5], v[152:153]
	v_mov_b32_e32 v149, v151
	v_pk_add_f32 v[152:153], v[158:159], v[152:153]
	v_pk_mul_f32 v[158:159], v[54:55], s[22:23] op_sel_hi:[1,0]
	v_mov_b32_e32 v13, v11
	v_pk_fma_f32 v[160:161], v[52:53], s[16:17], v[158:159] op_sel:[0,0,1] op_sel_hi:[1,0,0] neg_lo:[0,0,1] neg_hi:[0,0,1]
	v_pk_fma_f32 v[158:159], v[52:53], s[16:17], v[158:159] op_sel:[0,0,1] op_sel_hi:[1,0,0]
	v_mov_b32_e32 v162, v160
	v_mov_b32_e32 v163, v159
	v_pk_add_f32 v[152:153], v[162:163], v[152:153]
	v_pk_mul_f32 v[162:163], v[58:59], s[30:31] op_sel_hi:[1,0]
	v_mov_b32_e32 v159, v161
	v_pk_fma_f32 v[164:165], v[56:57], s[28:29], v[162:163] op_sel:[0,0,1] op_sel_hi:[1,0,0] neg_lo:[0,0,1] neg_hi:[0,0,1]
	v_pk_fma_f32 v[162:163], v[56:57], s[28:29], v[162:163] op_sel:[0,0,1] op_sel_hi:[1,0,0]
	v_mov_b32_e32 v166, v164
	;; [unrolled: 7-line block ×6, first 2 shown]
	v_mov_b32_e32 v183, v179
	v_pk_add_f32 v[152:153], v[182:183], v[152:153]
	v_pk_mul_f32 v[182:183], v[46:47], s[30:31] op_sel_hi:[1,0]
	v_pk_mul_f32 v[46:47], v[46:47], s[42:43] op_sel_hi:[1,0]
	v_pk_fma_f32 v[184:185], v[44:45], s[28:29], v[182:183] op_sel:[0,0,1] op_sel_hi:[1,0,0] neg_lo:[0,0,1] neg_hi:[0,0,1]
	v_pk_fma_f32 v[182:183], v[44:45], s[28:29], v[182:183] op_sel:[0,0,1] op_sel_hi:[1,0,0]
	v_mov_b32_e32 v186, v184
	v_mov_b32_e32 v187, v183
	v_pk_add_f32 v[186:187], v[4:5], v[186:187]
	v_mov_b32_e32 v183, v185
	v_pk_add_f32 v[186:187], v[192:193], v[186:187]
	v_pk_mul_f32 v[192:193], v[54:55], s[34:35] op_sel_hi:[1,0]
	v_pk_mul_f32 v[54:55], v[54:55], s[30:31] op_sel_hi:[1,0]
	v_pk_fma_f32 v[194:195], v[52:53], s[14:15], v[192:193] op_sel:[0,0,1] op_sel_hi:[1,0,0] neg_lo:[0,0,1] neg_hi:[0,0,1]
	v_pk_fma_f32 v[192:193], v[52:53], s[14:15], v[192:193] op_sel:[0,0,1] op_sel_hi:[1,0,0]
	v_mov_b32_e32 v196, v194
	v_mov_b32_e32 v197, v193
	v_pk_add_f32 v[186:187], v[196:197], v[186:187]
	v_pk_mul_f32 v[196:197], v[58:59], s[54:55] op_sel_hi:[1,0]
	v_mov_b32_e32 v193, v195
	v_pk_fma_f32 v[198:199], v[56:57], s[24:25], v[196:197] op_sel:[0,0,1] op_sel_hi:[1,0,0] neg_lo:[0,0,1] neg_hi:[0,0,1]
	v_pk_fma_f32 v[196:197], v[56:57], s[24:25], v[196:197] op_sel:[0,0,1] op_sel_hi:[1,0,0]
	v_mov_b32_e32 v200, v198
	v_mov_b32_e32 v201, v197
	v_pk_add_f32 v[186:187], v[200:201], v[186:187]
	v_pk_mul_f32 v[200:201], v[62:63], s[22:23] op_sel_hi:[1,0]
	v_mov_b32_e32 v197, v199
	;; [unrolled: 7-line block ×5, first 2 shown]
	v_pk_fma_f32 v[214:215], v[74:75], s[18:19], v[212:213] op_sel:[0,0,1] op_sel_hi:[1,0,0] neg_lo:[0,0,1] neg_hi:[0,0,1]
	v_pk_fma_f32 v[212:213], v[74:75], s[18:19], v[212:213] op_sel:[0,0,1] op_sel_hi:[1,0,0]
	v_mov_b32_e32 v216, v214
	v_mov_b32_e32 v217, v213
	v_pk_add_f32 v[186:187], v[216:217], v[186:187]
	ds_write2_b64 v147, v[152:153], v[186:187] offset0:6 offset1:7
	v_pk_fma_f32 v[152:153], v[44:45], s[40:41], v[46:47] op_sel:[0,0,1] op_sel_hi:[1,0,0] neg_lo:[0,0,1] neg_hi:[0,0,1]
	v_pk_fma_f32 v[44:45], v[44:45], s[40:41], v[46:47] op_sel:[0,0,1] op_sel_hi:[1,0,0]
	v_pk_mul_f32 v[46:47], v[50:51], s[44:45] op_sel_hi:[1,0]
	v_mov_b32_e32 v213, v215
	v_pk_fma_f32 v[50:51], v[48:49], s[16:17], v[46:47] op_sel:[0,0,1] op_sel_hi:[1,0,0] neg_lo:[0,0,1] neg_hi:[0,0,1]
	v_pk_fma_f32 v[46:47], v[48:49], s[16:17], v[46:47] op_sel:[0,0,1] op_sel_hi:[1,0,0]
	v_mov_b32_e32 v48, v152
	v_mov_b32_e32 v49, v45
	v_pk_add_f32 v[48:49], v[4:5], v[48:49]
	v_mov_b32_e32 v186, v50
	v_mov_b32_e32 v187, v47
	v_pk_add_f32 v[48:49], v[186:187], v[48:49]
	v_pk_fma_f32 v[186:187], v[52:53], s[28:29], v[54:55] op_sel:[0,0,1] op_sel_hi:[1,0,0] neg_lo:[0,0,1] neg_hi:[0,0,1]
	v_pk_fma_f32 v[52:53], v[52:53], s[28:29], v[54:55] op_sel:[0,0,1] op_sel_hi:[1,0,0]
	v_mov_b32_e32 v54, v186
	v_mov_b32_e32 v55, v53
	v_pk_add_f32 v[48:49], v[54:55], v[48:49]
	v_pk_mul_f32 v[54:55], v[58:59], s[50:51] op_sel_hi:[1,0]
	v_mov_b32_e32 v45, v153
	v_pk_fma_f32 v[58:59], v[56:57], s[12:13], v[54:55] op_sel:[0,0,1] op_sel_hi:[1,0,0] neg_lo:[0,0,1] neg_hi:[0,0,1]
	v_pk_fma_f32 v[54:55], v[56:57], s[12:13], v[54:55] op_sel:[0,0,1] op_sel_hi:[1,0,0]
	v_mov_b32_e32 v56, v58
	v_mov_b32_e32 v57, v55
	v_pk_add_f32 v[48:49], v[56:57], v[48:49]
	v_pk_mul_f32 v[56:57], v[62:63], s[26:27] op_sel_hi:[1,0]
	v_mov_b32_e32 v47, v51
	v_pk_fma_f32 v[62:63], v[60:61], s[24:25], v[56:57] op_sel:[0,0,1] op_sel_hi:[1,0,0] neg_lo:[0,0,1] neg_hi:[0,0,1]
	v_pk_fma_f32 v[56:57], v[60:61], s[24:25], v[56:57] op_sel:[0,0,1] op_sel_hi:[1,0,0]
	v_mov_b32_e32 v60, v62
	v_mov_b32_e32 v61, v57
	v_pk_add_f32 v[48:49], v[60:61], v[48:49]
	v_pk_mul_f32 v[60:61], v[66:67], s[38:39] op_sel_hi:[1,0]
	v_pk_add_f32 v[44:45], v[4:5], v[44:45]
	v_pk_fma_f32 v[66:67], v[64:65], s[10:11], v[60:61] op_sel:[0,0,1] op_sel_hi:[1,0,0] neg_lo:[0,0,1] neg_hi:[0,0,1]
	v_pk_fma_f32 v[60:61], v[64:65], s[10:11], v[60:61] op_sel:[0,0,1] op_sel_hi:[1,0,0]
	v_mov_b32_e32 v64, v66
	v_mov_b32_e32 v65, v61
	v_pk_add_f32 v[48:49], v[64:65], v[48:49]
	v_pk_mul_f32 v[64:65], v[70:71], s[20:21] op_sel_hi:[1,0]
	v_pk_add_f32 v[44:45], v[46:47], v[44:45]
	v_mov_b32_e32 v53, v187
	v_pk_fma_f32 v[70:71], v[68:69], s[18:19], v[64:65] op_sel:[0,0,1] op_sel_hi:[1,0,0] neg_lo:[0,0,1] neg_hi:[0,0,1]
	v_pk_fma_f32 v[64:65], v[68:69], s[18:19], v[64:65] op_sel:[0,0,1] op_sel_hi:[1,0,0]
	v_pk_add_f32 v[44:45], v[52:53], v[44:45]
	v_mov_b32_e32 v55, v59
	v_mov_b32_e32 v68, v70
	;; [unrolled: 1-line block ×3, first 2 shown]
	v_pk_add_f32 v[44:45], v[54:55], v[44:45]
	v_mov_b32_e32 v57, v63
	v_pk_add_f32 v[48:49], v[68:69], v[48:49]
	v_pk_mul_f32 v[68:69], v[76:77], s[46:47] op_sel_hi:[1,0]
	v_pk_add_f32 v[44:45], v[56:57], v[44:45]
	v_mov_b32_e32 v61, v67
	v_pk_fma_f32 v[76:77], v[74:75], s[14:15], v[68:69] op_sel:[0,0,1] op_sel_hi:[1,0,0] neg_lo:[0,0,1] neg_hi:[0,0,1]
	v_pk_fma_f32 v[68:69], v[74:75], s[14:15], v[68:69] op_sel:[0,0,1] op_sel_hi:[1,0,0]
	v_pk_add_f32 v[44:45], v[60:61], v[44:45]
	v_mov_b32_e32 v65, v71
	v_mov_b32_e32 v74, v76
	;; [unrolled: 1-line block ×3, first 2 shown]
	v_pk_add_f32 v[44:45], v[64:65], v[44:45]
	v_mov_b32_e32 v69, v77
	v_pk_add_f32 v[48:49], v[74:75], v[48:49]
	v_pk_add_f32 v[44:45], v[68:69], v[44:45]
	ds_write2_b64 v147, v[48:49], v[44:45] offset0:8 offset1:9
	v_pk_add_f32 v[44:45], v[4:5], v[182:183]
	v_pk_add_f32 v[46:47], v[4:5], v[148:149]
	;; [unrolled: 1-line block ×14, first 2 shown]
	v_mov_b32_e32 v179, v181
	v_pk_add_f32 v[44:45], v[212:213], v[44:45]
	v_pk_add_f32 v[46:47], v[178:179], v[46:47]
	ds_write2_b64 v147, v[44:45], v[46:47] offset0:10 offset1:11
	v_pk_add_f32 v[44:45], v[4:5], v[112:113]
	v_pk_add_f32 v[46:47], v[4:5], v[80:81]
	;; [unrolled: 1-line block ×4, first 2 shown]
	v_mov_b32_e32 v121, v119
	v_pk_add_f32 v[46:47], v[84:85], v[46:47]
	v_mov_b32_e32 v89, v87
	v_pk_add_f32 v[4:5], v[12:13], v[4:5]
	;; [unrolled: 2-line block ×18, first 2 shown]
	v_pk_add_f32 v[46:47], v[108:109], v[46:47]
	v_pk_add_f32 v[4:5], v[72:73], v[4:5]
	ds_write2_b64 v147, v[44:45], v[46:47] offset0:12 offset1:13
	ds_write2_b64 v147, v[4:5], v[0:1] offset0:14 offset1:15
	ds_write_b64 v147, v[2:3] offset:128
.LBB0_21:
	s_or_b64 exec, exec, s[6:7]
	s_mov_b32 s6, 0xf0f1
	v_mul_u32_u24_sdwa v5, v42, s6 dst_sel:DWORD dst_unused:UNUSED_PAD src0_sel:WORD_0 src1_sel:DWORD
	v_lshrrev_b32_e32 v34, 20, v5
	v_add_u32_e32 v4, 0x198, v36
	v_mul_lo_u16_e32 v5, 17, v34
	v_sub_u16_e32 v35, v42, v5
	v_mul_u32_u24_sdwa v5, v4, s6 dst_sel:DWORD dst_unused:UNUSED_PAD src0_sel:WORD_0 src1_sel:DWORD
	v_lshrrev_b32_e32 v45, 20, v5
	v_mul_lo_u16_e32 v5, 17, v45
	v_sub_u16_e32 v65, v4, v5
	v_lshlrev_b32_e32 v4, 4, v65
	s_waitcnt lgkmcnt(0)
	s_barrier
	global_load_dwordx4 v[4:7], v4, s[8:9]
	v_lshlrev_b32_e32 v8, 4, v35
	global_load_dwordx4 v[8:11], v8, s[8:9]
	v_mul_u32_u24_sdwa v12, v40, s6 dst_sel:DWORD dst_unused:UNUSED_PAD src0_sel:WORD_0 src1_sel:DWORD
	v_lshrrev_b32_e32 v42, 20, v12
	v_mul_lo_u16_e32 v12, 17, v42
	v_sub_u16_e32 v62, v40, v12
	v_add_u32_e32 v44, 0x66, v36
	s_movk_i32 s6, 0xf1
	v_lshlrev_b32_e32 v12, 4, v62
	v_mul_lo_u16_sdwa v16, v44, s6 dst_sel:DWORD dst_unused:UNUSED_PAD src0_sel:BYTE_0 src1_sel:DWORD
	global_load_dwordx4 v[12:15], v12, s[8:9]
	v_lshrrev_b16_e32 v63, 12, v16
	v_mul_lo_u16_e32 v16, 17, v63
	v_mov_b32_e32 v20, 4
	v_sub_u16_e32 v64, v44, v16
	v_mul_lo_u16_sdwa v21, v36, s6 dst_sel:DWORD dst_unused:UNUSED_PAD src0_sel:BYTE_0 src1_sel:DWORD
	v_lshlrev_b32_sdwa v16, v20, v64 dst_sel:DWORD dst_unused:UNUSED_PAD src0_sel:DWORD src1_sel:BYTE_0
	global_load_dwordx4 v[16:19], v16, s[8:9]
	v_lshrrev_b16_e32 v66, 12, v21
	v_mul_lo_u16_e32 v21, 17, v66
	v_sub_u16_e32 v67, v36, v21
	v_lshlrev_b32_sdwa v20, v20, v67 dst_sel:DWORD dst_unused:UNUSED_PAD src0_sel:DWORD src1_sel:BYTE_0
	global_load_dwordx4 v[20:23], v20, s[8:9]
	ds_read2_b64 v[24:27], v144 offset0:152 offset1:254
	ds_read2_b64 v[28:31], v146 offset0:48 offset1:150
	ds_read_b64 v[32:33], v142 offset:11424
	s_mov_b32 s10, 0x5040100
	s_movk_i32 s7, 0x198
	v_perm_b32 v34, v34, v42, s10
	v_mov_b32_e32 v68, 3
	v_pk_mul_lo_u16 v34, v34, s7 op_sel_hi:[1,0]
	v_mul_u32_u24_e32 v66, 0x198, v66
	v_lshlrev_b32_sdwa v42, v68, v67 dst_sel:DWORD dst_unused:UNUSED_PAD src0_sel:DWORD src1_sel:BYTE_0
	v_and_b32_e32 v67, 0xfff8, v34
	v_lshrrev_b32_e32 v34, 16, v34
	v_lshlrev_b32_e32 v35, 3, v35
	v_add_u32_e32 v54, 0x1000, v142
	v_lshlrev_b32_e32 v62, 3, v62
	v_add3_u32 v71, 0, v66, v42
	v_add3_u32 v74, 0, v34, v35
	v_add_u32_e32 v70, 0x1c00, v142
	ds_read2_b64 v[46:49], v143 offset0:72 offset1:174
	ds_read_b64 v[58:59], v41
	ds_read_b64 v[60:61], v37
	ds_read2_b64 v[50:53], v70 offset0:124 offset1:226
	ds_read2_b64 v[54:57], v54 offset0:100 offset1:202
	v_mul_u32_u24_e32 v63, 0x198, v63
	v_lshlrev_b32_sdwa v64, v68, v64 dst_sel:DWORD dst_unused:UNUSED_PAD src0_sel:DWORD src1_sel:BYTE_0
	v_add3_u32 v73, 0, v67, v62
	v_add3_u32 v72, 0, v63, v64
	s_mov_b32 s6, 0x3f5db3d7
	s_waitcnt vmcnt(4) lgkmcnt(6)
	v_pk_mul_f32 v[34:35], v[30:31], v[4:5] op_sel:[0,1]
	v_mov_b32_e32 v42, v7
	v_pk_fma_f32 v[66:67], v[30:31], v[4:5], v[34:35] op_sel:[0,0,1] op_sel_hi:[1,1,0] neg_lo:[0,0,1] neg_hi:[0,0,1]
	v_pk_fma_f32 v[4:5], v[30:31], v[4:5], v[34:35] op_sel:[0,0,1] op_sel_hi:[1,0,0]
	s_waitcnt lgkmcnt(5)
	v_pk_mul_f32 v[30:31], v[32:33], v[42:43] op_sel_hi:[1,0]
	s_waitcnt vmcnt(3)
	v_pk_mul_f32 v[62:63], v[28:29], v[8:9] op_sel:[0,1]
	v_mov_b32_e32 v64, v11
	v_mov_b32_e32 v67, v5
	v_pk_fma_f32 v[4:5], v[32:33], v[6:7], v[30:31] op_sel:[0,0,1] op_sel_hi:[1,1,0] neg_lo:[0,0,1] neg_hi:[0,0,1]
	v_pk_fma_f32 v[6:7], v[32:33], v[6:7], v[30:31] op_sel:[0,0,1] op_sel_hi:[1,0,0]
	v_pk_fma_f32 v[68:69], v[28:29], v[8:9], v[62:63] op_sel:[0,0,1] op_sel_hi:[1,1,0] neg_lo:[0,0,1] neg_hi:[0,0,1]
	v_pk_fma_f32 v[8:9], v[28:29], v[8:9], v[62:63] op_sel:[0,0,1] op_sel_hi:[1,0,0]
	s_waitcnt lgkmcnt(4)
	v_pk_mul_f32 v[28:29], v[48:49], v[64:65] op_sel_hi:[1,0]
	v_mov_b32_e32 v5, v7
	v_pk_add_f32 v[6:7], v[24:25], v[66:67]
	v_mov_b32_e32 v69, v9
	v_pk_fma_f32 v[30:31], v[48:49], v[10:11], v[28:29] op_sel:[0,0,1] op_sel_hi:[1,1,0] neg_lo:[0,0,1] neg_hi:[0,0,1]
	v_pk_fma_f32 v[8:9], v[48:49], v[10:11], v[28:29] op_sel:[0,0,1] op_sel_hi:[1,0,0]
	v_pk_add_f32 v[32:33], v[6:7], v[4:5]
	v_pk_add_f32 v[6:7], v[66:67], v[4:5]
	v_pk_add_f32 v[4:5], v[66:67], v[4:5] neg_lo:[0,1] neg_hi:[0,1]
	v_mov_b32_e32 v31, v9
	s_waitcnt lgkmcnt(3)
	v_pk_add_f32 v[8:9], v[58:59], v[68:69]
	v_pk_fma_f32 v[10:11], v[6:7], 0.5, v[24:25] op_sel_hi:[1,0,1] neg_lo:[1,0,0] neg_hi:[1,0,0]
	v_pk_mul_f32 v[4:5], v[4:5], s[6:7] op_sel_hi:[1,0]
	s_waitcnt vmcnt(1) lgkmcnt(0)
	v_pk_mul_f32 v[28:29], v[16:17], v[54:55] op_sel:[0,1]
	v_pk_add_f32 v[6:7], v[10:11], v[4:5] op_sel:[0,1] op_sel_hi:[1,0] neg_lo:[0,1] neg_hi:[0,1]
	v_pk_add_f32 v[34:35], v[4:5], v[10:11] op_sel:[1,0] op_sel_hi:[0,1]
	v_pk_add_f32 v[4:5], v[8:9], v[30:31]
	v_pk_mul_f32 v[8:9], v[56:57], v[12:13] op_sel:[0,1]
	s_nop 0
	v_pk_fma_f32 v[24:25], v[56:57], v[12:13], v[8:9] op_sel:[0,0,1] op_sel_hi:[1,1,0] neg_lo:[0,0,1] neg_hi:[0,0,1]
	v_pk_fma_f32 v[8:9], v[56:57], v[12:13], v[8:9] op_sel:[0,0,1] op_sel_hi:[1,0,0]
	s_nop 0
	v_mov_b32_e32 v8, v15
	v_mov_b32_e32 v25, v9
	v_pk_mul_f32 v[8:9], v[46:47], v[8:9] op_sel_hi:[1,0]
	s_nop 0
	v_pk_fma_f32 v[12:13], v[46:47], v[14:15], v[8:9] op_sel:[0,0,1] op_sel_hi:[1,1,0] neg_lo:[0,0,1] neg_hi:[0,0,1]
	v_pk_fma_f32 v[8:9], v[46:47], v[14:15], v[8:9] op_sel:[0,0,1] op_sel_hi:[1,0,0]
	v_pk_fma_f32 v[46:47], v[16:17], v[54:55], v[28:29] op_sel:[0,0,1] op_sel_hi:[1,1,0] neg_lo:[0,0,1] neg_hi:[0,0,1]
	v_mov_b32_e32 v13, v9
	v_pk_add_f32 v[8:9], v[60:61], v[24:25]
	v_pk_fma_f32 v[16:17], v[16:17], v[54:55], v[28:29] op_sel:[0,0,1] op_sel_hi:[1,0,0]
	v_pk_add_f32 v[14:15], v[8:9], v[12:13]
	ds_read2_b64 v[8:11], v142 offset1:102
	v_mov_b32_e32 v47, v17
	v_pk_mul_f32 v[16:17], v[18:19], v[52:53] op_sel:[0,1]
	s_waitcnt lgkmcnt(0)
	v_pk_fma_f32 v[28:29], v[18:19], v[52:53], v[16:17] op_sel:[0,0,1] op_sel_hi:[1,1,0] neg_lo:[0,0,1] neg_hi:[0,0,1]
	v_pk_fma_f32 v[16:17], v[18:19], v[52:53], v[16:17] op_sel:[0,0,1] op_sel_hi:[1,0,0]
	s_waitcnt vmcnt(0)
	v_pk_mul_f32 v[18:19], v[20:21], v[26:27] op_sel:[0,1]
	v_mov_b32_e32 v29, v17
	v_pk_fma_f32 v[48:49], v[20:21], v[26:27], v[18:19] op_sel:[0,0,1] op_sel_hi:[1,1,0] neg_lo:[0,0,1] neg_hi:[0,0,1]
	v_pk_fma_f32 v[18:19], v[20:21], v[26:27], v[18:19] op_sel:[0,0,1] op_sel_hi:[1,0,0]
	s_barrier
	v_mov_b32_e32 v49, v19
	v_pk_mul_f32 v[18:19], v[22:23], v[50:51] op_sel:[0,1]
	s_nop 0
	v_pk_fma_f32 v[20:21], v[22:23], v[50:51], v[18:19] op_sel:[0,0,1] op_sel_hi:[1,1,0] neg_lo:[0,0,1] neg_hi:[0,0,1]
	v_pk_fma_f32 v[18:19], v[22:23], v[50:51], v[18:19] op_sel:[0,0,1] op_sel_hi:[1,0,0]
	v_pk_add_f32 v[16:17], v[10:11], v[46:47]
	v_mov_b32_e32 v21, v19
	v_pk_add_f32 v[18:19], v[8:9], v[48:49]
	v_pk_add_f32 v[22:23], v[48:49], v[20:21]
	;; [unrolled: 1-line block ×3, first 2 shown]
	v_pk_add_f32 v[20:21], v[48:49], v[20:21] neg_lo:[0,1] neg_hi:[0,1]
	v_pk_fma_f32 v[8:9], v[22:23], 0.5, v[8:9] op_sel_hi:[1,0,1] neg_lo:[1,0,0] neg_hi:[1,0,0]
	v_pk_mul_f32 v[20:21], v[20:21], s[6:7] op_sel_hi:[1,0]
	v_pk_add_f32 v[16:17], v[16:17], v[28:29]
	v_pk_add_f32 v[22:23], v[8:9], v[20:21] op_sel:[0,1] op_sel_hi:[1,0]
	v_pk_add_f32 v[8:9], v[8:9], v[20:21] op_sel:[0,1] op_sel_hi:[1,0] neg_lo:[0,1] neg_hi:[0,1]
	v_mov_b32_e32 v20, v22
	v_mov_b32_e32 v21, v9
	;; [unrolled: 1-line block ×3, first 2 shown]
	ds_write_b64 v71, v[8:9] offset:272
	v_pk_add_f32 v[8:9], v[46:47], v[28:29]
	ds_write2_b64 v71, v[18:19], v[20:21] offset1:17
	v_pk_fma_f32 v[8:9], v[8:9], 0.5, v[10:11] op_sel_hi:[1,0,1] neg_lo:[1,0,0] neg_hi:[1,0,0]
	v_pk_add_f32 v[10:11], v[46:47], v[28:29] neg_lo:[0,1] neg_hi:[0,1]
	s_nop 0
	v_pk_mul_f32 v[10:11], v[10:11], s[6:7] op_sel_hi:[1,0]
	s_nop 0
	v_pk_add_f32 v[18:19], v[8:9], v[10:11] op_sel:[0,1] op_sel_hi:[1,0]
	v_pk_add_f32 v[8:9], v[8:9], v[10:11] op_sel:[0,1] op_sel_hi:[1,0] neg_lo:[0,1] neg_hi:[0,1]
	v_mov_b32_e32 v10, v18
	v_mov_b32_e32 v11, v9
	;; [unrolled: 1-line block ×3, first 2 shown]
	ds_write2_b64 v72, v[16:17], v[10:11] offset1:17
	ds_write_b64 v72, v[8:9] offset:272
	v_pk_add_f32 v[8:9], v[24:25], v[12:13]
	v_pk_add_f32 v[10:11], v[24:25], v[12:13] neg_lo:[0,1] neg_hi:[0,1]
	v_pk_fma_f32 v[8:9], v[8:9], 0.5, v[60:61] op_sel_hi:[1,0,1] neg_lo:[1,0,0] neg_hi:[1,0,0]
	v_pk_mul_f32 v[10:11], v[10:11], s[6:7] op_sel_hi:[1,0]
	s_nop 0
	v_pk_add_f32 v[12:13], v[8:9], v[10:11] op_sel:[0,1] op_sel_hi:[1,0]
	v_pk_add_f32 v[8:9], v[8:9], v[10:11] op_sel:[0,1] op_sel_hi:[1,0] neg_lo:[0,1] neg_hi:[0,1]
	v_mov_b32_e32 v10, v12
	v_mov_b32_e32 v11, v9
	v_mov_b32_e32 v9, v13
	ds_write2_b64 v73, v[14:15], v[10:11] offset1:17
	ds_write_b64 v73, v[8:9] offset:272
	v_pk_add_f32 v[8:9], v[68:69], v[30:31]
	v_pk_add_f32 v[10:11], v[68:69], v[30:31] neg_lo:[0,1] neg_hi:[0,1]
	v_pk_fma_f32 v[8:9], v[8:9], 0.5, v[58:59] op_sel_hi:[1,0,1] neg_lo:[1,0,0] neg_hi:[1,0,0]
	v_pk_mul_f32 v[10:11], v[10:11], s[6:7] op_sel_hi:[1,0]
	s_nop 0
	v_pk_add_f32 v[12:13], v[8:9], v[10:11] op_sel:[0,1] op_sel_hi:[1,0]
	v_pk_add_f32 v[8:9], v[8:9], v[10:11] op_sel:[0,1] op_sel_hi:[1,0] neg_lo:[0,1] neg_hi:[0,1]
	v_mov_b32_e32 v10, v12
	v_mov_b32_e32 v11, v9
	ds_write2_b64 v74, v[4:5], v[10:11] offset1:17
	v_mov_b32_e32 v9, v13
	v_mul_u32_u24_e32 v4, 0x198, v45
	v_lshlrev_b32_e32 v5, 3, v65
	ds_write_b64 v74, v[8:9] offset:272
	v_add3_u32 v8, 0, v4, v5
	v_mov_b32_e32 v4, v34
	v_mov_b32_e32 v5, v7
	ds_write2_b64 v8, v[32:33], v[4:5] offset1:17
	v_mov_b32_e32 v4, v6
	v_mov_b32_e32 v5, v35
	ds_write_b64 v8, v[4:5] offset:272
	v_add_u32_e32 v4, 0xc00, v142
	s_waitcnt lgkmcnt(0)
	s_barrier
	ds_read2_b64 v[8:11], v142 offset1:102
	ds_read2_b64 v[16:19], v43 offset0:127 offset1:229
	ds_read2_b64 v[20:23], v4 offset0:126 offset1:228
	;; [unrolled: 1-line block ×5, first 2 shown]
	s_and_saveexec_b64 s[6:7], s[4:5]
	s_xor_b64 s[4:5], exec, s[6:7]
	s_or_saveexec_b64 s[4:5], s[4:5]
                                        ; implicit-def: $vgpr42
	s_xor_b64 exec, exec, s[4:5]
	s_cbranch_execz .LBB0_23
; %bb.22:
	v_add_u32_e32 v0, 0xe58, v142
	ds_read2_b64 v[4:7], v0 offset1:255
	v_add_u32_e32 v0, 0x1e48, v142
	ds_read2_b64 v[0:3], v0 offset1:255
	ds_read_b64 v[32:33], v37
	ds_read_b64 v[42:43], v142 offset:11832
	s_waitcnt lgkmcnt(3)
	v_mov_b32_e32 v34, v4
	v_mov_b32_e32 v35, v7
	;; [unrolled: 1-line block ×3, first 2 shown]
.LBB0_23:
	s_or_b64 exec, exec, s[4:5]
	s_movk_i32 s4, 0xa1
	v_subrev_u32_e32 v4, 51, v36
	v_mul_lo_u16_sdwa v54, v44, s4 dst_sel:DWORD dst_unused:UNUSED_PAD src0_sel:BYTE_0 src1_sel:DWORD
	v_cndmask_b32_e64 v45, v4, v36, s[2:3]
	v_lshrrev_b16_e32 v68, 13, v54
	v_mul_i32_i24_e32 v4, 5, v45
	v_mov_b32_e32 v5, 0
	v_mul_lo_u16_e32 v54, 51, v68
	v_lshl_add_u64 v[62:63], v[4:5], 3, s[8:9]
	v_mov_b32_e32 v4, 5
	v_sub_u16_e32 v69, v44, v54
	global_load_dwordx4 v[46:49], v[62:63], off offset:272
	global_load_dwordx4 v[50:53], v[62:63], off offset:288
	v_mul_u32_u24_sdwa v4, v69, v4 dst_sel:DWORD dst_unused:UNUSED_PAD src0_sel:BYTE_0 src1_sel:DWORD
	v_lshlrev_b32_e32 v4, 3, v4
	global_load_dwordx4 v[54:57], v4, s[8:9] offset:272
	global_load_dwordx4 v[58:61], v4, s[8:9] offset:288
	global_load_dwordx2 v[64:65], v4, s[8:9] offset:304
	global_load_dwordx2 v[66:67], v[62:63], off offset:304
	v_mov_b32_e32 v4, 0x990
	v_cmp_lt_u32_e32 vcc, 50, v36
	v_mov_b32_e32 v62, 3
	v_lshlrev_b32_e32 v45, 3, v45
	v_cndmask_b32_e32 v4, 0, v4, vcc
	v_add3_u32 v45, 0, v4, v45
	v_mul_u32_u24_e32 v4, 0x990, v68
	v_lshlrev_b32_sdwa v62, v62, v69 dst_sel:DWORD dst_unused:UNUSED_PAD src0_sel:DWORD src1_sel:BYTE_0
	v_add3_u32 v76, 0, v4, v62
	s_mov_b32 s4, 0x3f5db3d7
	s_mov_b32 s5, 0xbf5db3d7
	s_waitcnt lgkmcnt(0)
	s_barrier
	s_waitcnt vmcnt(5)
	v_pk_mul_f32 v[62:63], v[46:47], v[16:17] op_sel:[0,1]
	v_pk_mul_f32 v[68:69], v[48:49], v[20:21] op_sel:[0,1]
	s_waitcnt vmcnt(4)
	v_pk_mul_f32 v[70:71], v[50:51], v[24:25] op_sel:[0,1]
	v_pk_mul_f32 v[72:73], v[52:53], v[12:13] op_sel:[0,1]
	v_pk_fma_f32 v[74:75], v[46:47], v[16:17], v[62:63] op_sel:[0,0,1] op_sel_hi:[1,1,0] neg_lo:[0,0,1] neg_hi:[0,0,1]
	v_pk_fma_f32 v[16:17], v[46:47], v[16:17], v[62:63] op_sel:[0,0,1] op_sel_hi:[1,0,0]
	v_pk_fma_f32 v[46:47], v[48:49], v[20:21], v[68:69] op_sel:[0,0,1] op_sel_hi:[1,1,0] neg_lo:[0,0,1] neg_hi:[0,0,1]
	v_pk_fma_f32 v[20:21], v[48:49], v[20:21], v[68:69] op_sel:[0,0,1] op_sel_hi:[1,0,0]
	;; [unrolled: 2-line block ×4, first 2 shown]
	v_mov_b32_e32 v49, v25
	v_mov_b32_e32 v51, v13
	s_waitcnt vmcnt(3)
	v_pk_mul_f32 v[12:13], v[54:55], v[18:19] op_sel:[0,1]
	s_waitcnt vmcnt(1)
	v_pk_mul_f32 v[24:25], v[30:31], v[64:65] op_sel:[0,1]
	s_waitcnt vmcnt(0)
	v_pk_mul_f32 v[52:53], v[66:67], v[28:29] op_sel:[0,1]
	v_pk_fma_f32 v[72:73], v[54:55], v[18:19], v[12:13] op_sel:[0,0,1] op_sel_hi:[1,1,0] neg_lo:[0,0,1] neg_hi:[0,0,1]
	v_pk_fma_f32 v[12:13], v[54:55], v[18:19], v[12:13] op_sel:[0,0,1] op_sel_hi:[1,0,0]
	v_pk_fma_f32 v[54:55], v[30:31], v[64:65], v[24:25] op_sel:[0,0,1] op_sel_hi:[1,1,0] neg_lo:[0,0,1] neg_hi:[0,0,1]
	v_pk_fma_f32 v[24:25], v[30:31], v[64:65], v[24:25] op_sel:[0,0,1] op_sel_hi:[1,0,0]
	;; [unrolled: 2-line block ×3, first 2 shown]
	v_mov_b32_e32 v75, v17
	v_mov_b32_e32 v47, v21
	;; [unrolled: 1-line block ×3, first 2 shown]
	v_pk_mul_f32 v[16:17], v[56:57], v[22:23] op_sel:[0,1]
	v_pk_add_f32 v[62:63], v[8:9], v[46:47]
	v_pk_add_f32 v[68:69], v[74:75], v[48:49]
	;; [unrolled: 1-line block ×3, first 2 shown]
	v_pk_add_f32 v[46:47], v[46:47], v[50:51] neg_lo:[0,1] neg_hi:[0,1]
	v_pk_add_f32 v[28:29], v[48:49], v[30:31]
	v_pk_mul_f32 v[20:21], v[58:59], v[26:27] op_sel:[0,1]
	v_mov_b32_e32 v4, v61
	v_pk_fma_f32 v[18:19], v[56:57], v[22:23], v[16:17] op_sel:[0,0,1] op_sel_hi:[1,1,0] neg_lo:[0,0,1] neg_hi:[0,0,1]
	v_pk_fma_f32 v[16:17], v[56:57], v[22:23], v[16:17] op_sel:[0,0,1] op_sel_hi:[1,0,0]
	v_pk_fma_f32 v[8:9], v[70:71], 0.5, v[8:9] op_sel_hi:[1,0,1] neg_lo:[1,0,0] neg_hi:[1,0,0]
	v_pk_mul_f32 v[46:47], v[46:47], s[4:5] op_sel_hi:[1,0]
	v_mov_b32_e32 v55, v25
	v_pk_add_f32 v[24:25], v[68:69], v[30:31]
	v_pk_fma_f32 v[28:29], v[28:29], 0.5, v[74:75] op_sel_hi:[1,0,1] neg_lo:[1,0,0] neg_hi:[1,0,0]
	v_pk_add_f32 v[30:31], v[48:49], v[30:31] neg_lo:[0,1] neg_hi:[0,1]
	v_pk_fma_f32 v[22:23], v[58:59], v[26:27], v[20:21] op_sel:[0,0,1] op_sel_hi:[1,1,0] neg_lo:[0,0,1] neg_hi:[0,0,1]
	v_pk_fma_f32 v[20:21], v[58:59], v[26:27], v[20:21] op_sel:[0,0,1] op_sel_hi:[1,0,0]
	v_pk_mul_f32 v[26:27], v[14:15], v[4:5] op_sel_hi:[1,0]
	v_mov_b32_e32 v19, v17
	v_pk_add_f32 v[16:17], v[46:47], v[8:9] op_sel:[1,0] op_sel_hi:[0,1]
	v_pk_fma_f32 v[48:49], v[30:31], s[4:5], v[28:29] op_sel:[0,0,1] op_sel_hi:[1,0,0]
	v_pk_fma_f32 v[28:29], v[30:31], s[4:5], v[28:29] op_sel:[0,0,1] op_sel_hi:[1,0,0] neg_lo:[1,0,0] neg_hi:[1,0,0]
	v_mov_b32_e32 v73, v13
	v_pk_fma_f32 v[12:13], v[14:15], v[60:61], v[26:27] op_sel:[0,0,1] op_sel_hi:[1,1,0] neg_lo:[0,0,1] neg_hi:[0,0,1]
	v_pk_fma_f32 v[14:15], v[14:15], v[60:61], v[26:27] op_sel:[0,0,1] op_sel_hi:[1,0,0]
	v_mov_b32_e32 v27, v17
	v_mov_b32_e32 v30, v48
	;; [unrolled: 1-line block ×3, first 2 shown]
	v_mul_f32_e32 v17, 0xbf5db3d7, v49
	v_pk_add_f32 v[8:9], v[8:9], v[46:47] op_sel:[0,1] op_sel_hi:[1,0] neg_lo:[0,1] neg_hi:[0,1]
	v_mul_f32_e32 v4, 0x3f5db3d7, v28
	v_fmac_f32_e32 v17, 0.5, v28
	v_pk_mul_f32 v[28:29], v[30:31], 0.5 op_sel_hi:[1,0]
	v_pk_add_f32 v[50:51], v[62:63], v[50:51]
	v_mov_b32_e32 v26, v8
	v_fmac_f32_e32 v4, 0.5, v49
	v_pk_fma_f32 v[28:29], v[30:31], s[4:5], v[28:29] op_sel:[0,0,1] op_sel_hi:[1,1,0] neg_lo:[0,0,1] neg_hi:[0,0,1]
	v_add_f32_e32 v48, v16, v4
	v_add_f32_e32 v49, v9, v17
	v_pk_add_f32 v[30:31], v[26:27], v[28:29]
	v_sub_f32_e32 v8, v16, v4
	v_sub_f32_e32 v9, v9, v17
	v_pk_add_f32 v[16:17], v[50:51], v[24:25] neg_lo:[0,1] neg_hi:[0,1]
	v_mov_b32_e32 v13, v15
	ds_write2_b64 v45, v[30:31], v[16:17] offset0:102 offset1:153
	v_pk_add_f32 v[16:17], v[26:27], v[28:29] neg_lo:[0,1] neg_hi:[0,1]
	v_mov_b32_e32 v23, v21
	ds_write2_b64 v45, v[8:9], v[16:17] offset0:204 offset1:255
	v_pk_add_f32 v[8:9], v[18:19], v[12:13]
	v_pk_add_f32 v[14:15], v[10:11], v[18:19]
	v_pk_fma_f32 v[8:9], v[8:9], 0.5, v[10:11] op_sel_hi:[1,0,1] neg_lo:[1,0,0] neg_hi:[1,0,0]
	v_pk_add_f32 v[10:11], v[18:19], v[12:13] neg_lo:[0,1] neg_hi:[0,1]
	v_pk_add_f32 v[16:17], v[22:23], v[54:55]
	v_pk_mul_f32 v[10:11], v[10:11], s[4:5] op_sel_hi:[1,0]
	v_pk_fma_f32 v[16:17], v[16:17], 0.5, v[72:73] op_sel_hi:[1,0,1] neg_lo:[1,0,0] neg_hi:[1,0,0]
	v_pk_add_f32 v[18:19], v[22:23], v[54:55] neg_lo:[0,1] neg_hi:[0,1]
	v_pk_add_f32 v[20:21], v[72:73], v[22:23]
	v_pk_add_f32 v[14:15], v[14:15], v[12:13]
	v_pk_add_f32 v[12:13], v[10:11], v[8:9] op_sel:[1,0] op_sel_hi:[0,1]
	v_pk_fma_f32 v[22:23], v[18:19], s[4:5], v[16:17] op_sel:[0,0,1] op_sel_hi:[1,0,0]
	v_pk_fma_f32 v[16:17], v[18:19], s[4:5], v[16:17] op_sel:[0,0,1] op_sel_hi:[1,0,0] neg_lo:[1,0,0] neg_hi:[1,0,0]
	v_pk_add_f32 v[8:9], v[8:9], v[10:11] op_sel:[0,1] op_sel_hi:[1,0] neg_lo:[0,1] neg_hi:[0,1]
	v_mov_b32_e32 v11, v13
	v_mov_b32_e32 v18, v22
	;; [unrolled: 1-line block ×3, first 2 shown]
	v_mul_f32_e32 v13, 0xbf5db3d7, v23
	v_mul_f32_e32 v4, 0x3f5db3d7, v16
	v_fmac_f32_e32 v13, 0.5, v16
	v_pk_mul_f32 v[16:17], v[18:19], 0.5 op_sel_hi:[1,0]
	v_pk_add_f32 v[20:21], v[20:21], v[54:55]
	v_mov_b32_e32 v10, v8
	v_fmac_f32_e32 v4, 0.5, v23
	v_pk_fma_f32 v[16:17], v[18:19], s[4:5], v[16:17] op_sel:[0,0,1] op_sel_hi:[1,1,0] neg_lo:[0,0,1] neg_hi:[0,0,1]
	v_pk_add_f32 v[46:47], v[50:51], v[24:25]
	v_pk_add_f32 v[52:53], v[14:15], v[20:21]
	v_add_f32_e32 v22, v12, v4
	v_add_f32_e32 v23, v9, v13
	v_pk_add_f32 v[18:19], v[10:11], v[16:17]
	v_sub_f32_e32 v8, v12, v4
	v_sub_f32_e32 v9, v9, v13
	v_pk_add_f32 v[12:13], v[14:15], v[20:21] neg_lo:[0,1] neg_hi:[0,1]
	v_pk_add_f32 v[10:11], v[10:11], v[16:17] neg_lo:[0,1] neg_hi:[0,1]
	ds_write2_b64 v45, v[46:47], v[48:49] offset1:51
	ds_write2_b64 v76, v[52:53], v[22:23] offset1:51
	ds_write2_b64 v76, v[18:19], v[12:13] offset0:102 offset1:153
	ds_write2_b64 v76, v[8:9], v[10:11] offset0:204 offset1:255
	s_and_saveexec_b64 s[6:7], s[2:3]
	s_cbranch_execz .LBB0_25
; %bb.24:
	s_mov_b32 s2, 0xa0a1
	v_mul_u32_u24_sdwa v4, v40, s2 dst_sel:DWORD dst_unused:UNUSED_PAD src0_sel:WORD_0 src1_sel:DWORD
	v_lshrrev_b32_e32 v4, 21, v4
	v_mul_lo_u16_e32 v4, 51, v4
	v_sub_u16_e32 v18, v40, v4
	v_mul_u32_u24_e32 v4, 5, v18
	v_lshlrev_b32_e32 v4, 3, v4
	global_load_dwordx4 v[8:11], v4, s[8:9] offset:272
	global_load_dwordx4 v[12:15], v4, s[8:9] offset:288
	global_load_dwordx2 v[16:17], v4, s[8:9] offset:304
	v_mov_b32_e32 v4, v43
	v_lshl_add_u32 v18, v18, 3, 0
	v_add_u32_e32 v30, 0x2000, v18
	v_add_u32_e32 v31, 0x2800, v18
	s_waitcnt vmcnt(2)
	v_pk_mul_f32 v[18:19], v[34:35], v[10:11] op_sel:[1,0]
	s_waitcnt vmcnt(1)
	v_pk_mul_f32 v[20:21], v[2:3], v[14:15] op_sel:[1,0]
	v_pk_mul_f32 v[24:25], v[0:1], v[12:13] op_sel:[1,0]
	s_waitcnt vmcnt(0)
	v_pk_mul_f32 v[26:27], v[4:5], v[16:17] op_sel_hi:[0,1]
	v_pk_mul_f32 v[22:23], v[6:7], v[8:9] op_sel:[1,0]
	v_pk_fma_f32 v[28:29], v[6:7], v[10:11], v[18:19] op_sel:[0,0,1] op_sel_hi:[1,1,0] neg_lo:[0,0,1] neg_hi:[0,0,1]
	v_pk_fma_f32 v[6:7], v[6:7], v[10:11], v[18:19] op_sel:[0,0,1] op_sel_hi:[0,1,0]
	v_pk_fma_f32 v[10:11], v[2:3], v[14:15], v[20:21] op_sel:[0,0,1] op_sel_hi:[1,1,0] neg_lo:[0,0,1] neg_hi:[0,0,1]
	v_pk_fma_f32 v[2:3], v[2:3], v[14:15], v[20:21] op_sel:[0,0,1] op_sel_hi:[0,1,0]
	;; [unrolled: 2-line block ×5, first 2 shown]
	v_mov_b32_e32 v15, v1
	v_mov_b32_e32 v13, v17
	;; [unrolled: 1-line block ×5, first 2 shown]
	v_pk_add_f32 v[8:9], v[14:15], v[12:13]
	v_pk_add_f32 v[0:1], v[32:33], v[28:29]
	;; [unrolled: 1-line block ×3, first 2 shown]
	v_pk_add_f32 v[6:7], v[14:15], v[12:13] neg_lo:[0,1] neg_hi:[0,1]
	v_pk_add_f32 v[14:15], v[28:29], v[10:11]
	v_pk_add_f32 v[16:17], v[28:29], v[10:11] neg_lo:[0,1] neg_hi:[0,1]
	v_pk_fma_f32 v[8:9], v[8:9], 0.5, v[18:19] op_sel_hi:[1,0,1] neg_lo:[1,0,0] neg_hi:[1,0,0]
	v_pk_add_f32 v[0:1], v[0:1], v[10:11]
	v_pk_add_f32 v[2:3], v[2:3], v[12:13]
	v_pk_fma_f32 v[10:11], v[14:15], 0.5, v[32:33] op_sel_hi:[1,0,1] neg_lo:[1,0,0] neg_hi:[1,0,0]
	v_pk_mul_f32 v[12:13], v[16:17], s[4:5] op_sel_hi:[1,0]
	v_pk_fma_f32 v[16:17], v[6:7], s[4:5], v[8:9] op_sel:[0,0,1] op_sel_hi:[1,0,0]
	v_pk_fma_f32 v[6:7], v[6:7], s[4:5], v[8:9] op_sel:[0,0,1] op_sel_hi:[1,0,0] neg_lo:[1,0,0] neg_hi:[1,0,0]
	v_pk_add_f32 v[14:15], v[0:1], v[2:3]
	v_pk_add_f32 v[8:9], v[10:11], v[12:13] op_sel:[0,1] op_sel_hi:[1,0] neg_lo:[0,1] neg_hi:[0,1]
	v_pk_add_f32 v[0:1], v[0:1], v[2:3] neg_lo:[0,1] neg_hi:[0,1]
	v_mov_b32_e32 v2, v16
	v_mov_b32_e32 v3, v7
	v_pk_add_f32 v[10:11], v[10:11], v[12:13] op_sel:[0,1] op_sel_hi:[1,0]
	v_mov_b32_e32 v12, v8
	v_mul_f32_e32 v4, 0xbf5db3d7, v17
	v_mul_f32_e32 v8, 0x3f5db3d7, v6
	v_pk_mul_f32 v[18:19], v[2:3], 0.5 op_sel_hi:[1,0]
	v_mov_b32_e32 v13, v11
	v_fmac_f32_e32 v4, 0.5, v6
	v_fmac_f32_e32 v8, 0.5, v17
	v_pk_fma_f32 v[2:3], v[2:3], s[4:5], v[18:19] op_sel:[0,0,1] op_sel_hi:[1,1,0] neg_lo:[0,0,1] neg_hi:[0,0,1]
	v_sub_f32_e32 v7, v9, v4
	v_sub_f32_e32 v6, v10, v8
	v_add_f32_e32 v9, v9, v4
	v_add_f32_e32 v8, v10, v8
	v_pk_add_f32 v[10:11], v[12:13], v[2:3]
	ds_write2_b64 v30, v[14:15], v[8:9] offset0:200 offset1:251
	v_pk_add_f32 v[2:3], v[12:13], v[2:3] neg_lo:[0,1] neg_hi:[0,1]
	ds_write2_b64 v31, v[10:11], v[0:1] offset0:46 offset1:97
	ds_write2_b64 v31, v[6:7], v[2:3] offset0:148 offset1:199
.LBB0_25:
	s_or_b64 exec, exec, s[6:7]
	v_lshlrev_b32_e32 v4, 2, v36
	v_lshl_add_u64 v[10:11], v[4:5], 3, s[8:9]
	s_waitcnt lgkmcnt(0)
	s_barrier
	global_load_dwordx4 v[0:3], v[10:11], off offset:2312
	global_load_dwordx4 v[6:9], v[10:11], off offset:2328
	v_lshlrev_b32_e32 v4, 2, v44
	v_lshl_add_u64 v[18:19], v[4:5], 3, s[8:9]
	global_load_dwordx4 v[10:13], v[18:19], off offset:2312
	global_load_dwordx4 v[14:17], v[18:19], off offset:2328
	v_lshlrev_b32_e32 v4, 2, v40
	v_lshl_add_u64 v[4:5], v[4:5], 3, s[8:9]
	global_load_dwordx4 v[18:21], v[4:5], off offset:2312
	global_load_dwordx4 v[22:25], v[4:5], off offset:2328
	v_add_u32_e32 v40, 0xc00, v142
	v_add_u32_e32 v44, 0x2000, v142
	;; [unrolled: 1-line block ×5, first 2 shown]
	ds_read2_b64 v[26:29], v142 offset1:102
	ds_read_b64 v[4:5], v41
	ds_read_b64 v[34:35], v37
	ds_read2_b64 v[30:33], v40 offset0:126 offset1:228
	ds_read2_b32 v[56:57], v40 offset0:48 offset1:49
	ds_read2_b64 v[40:43], v70 offset0:150 offset1:252
	ds_read2_b64 v[44:47], v44 offset0:98 offset1:200
	ds_read2_b64 v[48:51], v48 offset0:74 offset1:176
	ds_read2_b64 v[52:55], v52 offset0:46 offset1:148
	s_waitcnt lgkmcnt(4)
	v_mov_b32_e32 v58, v57
	s_mov_b32 s4, 0x3f737871
	s_mov_b32 s6, 0x3f167918
	s_waitcnt lgkmcnt(0)
	s_barrier
	s_mov_b32 s2, 0x3e9e377a
	s_waitcnt vmcnt(5)
	v_pk_mul_f32 v[60:61], v[0:1], v[4:5] op_sel:[0,1]
	v_pk_mul_f32 v[62:63], v[2:3], v[32:33] op_sel:[0,1]
	s_waitcnt vmcnt(4)
	v_pk_mul_f32 v[64:65], v[6:7], v[40:41] op_sel:[0,1]
	v_pk_mul_f32 v[66:67], v[8:9], v[46:47] op_sel:[0,1]
	v_pk_fma_f32 v[68:69], v[0:1], v[4:5], v[60:61] op_sel:[0,0,1] op_sel_hi:[1,1,0] neg_lo:[0,0,1] neg_hi:[0,0,1]
	v_pk_fma_f32 v[0:1], v[0:1], v[4:5], v[60:61] op_sel:[0,0,1] op_sel_hi:[1,0,0]
	v_pk_fma_f32 v[4:5], v[2:3], v[32:33], v[62:63] op_sel:[0,0,1] op_sel_hi:[1,1,0] neg_lo:[0,0,1] neg_hi:[0,0,1]
	v_pk_fma_f32 v[2:3], v[2:3], v[32:33], v[62:63] op_sel:[0,0,1] op_sel_hi:[1,0,0]
	;; [unrolled: 2-line block ×4, first 2 shown]
	s_waitcnt vmcnt(3)
	v_pk_mul_f32 v[46:47], v[58:59], v[10:11] op_sel_hi:[0,1]
	v_mov_b32_e32 v0, v13
	s_waitcnt vmcnt(2)
	v_pk_mul_f32 v[58:59], v[42:43], v[14:15] op_sel:[0,1]
	v_mov_b32_e32 v2, v17
	v_mov_b32_e32 v69, v1
	;; [unrolled: 1-line block ×3, first 2 shown]
	v_pk_fma_f32 v[8:9], v[10:11], v[56:57], v[46:47] op_sel:[0,0,1] op_sel_hi:[1,0,0]
	v_mov_b32_e32 v5, v3
	v_mov_b32_e32 v33, v7
	v_pk_fma_f32 v[6:7], v[10:11], v[56:57], v[46:47] op_sel:[0,0,1] op_sel_hi:[1,1,0] neg_lo:[0,0,1] neg_hi:[0,0,1]
	v_pk_mul_f32 v[0:1], v[48:49], v[0:1] op_sel_hi:[1,0]
	v_pk_fma_f32 v[10:11], v[42:43], v[14:15], v[58:59] op_sel:[0,0,1] op_sel_hi:[1,1,0] neg_lo:[0,0,1] neg_hi:[0,0,1]
	v_pk_fma_f32 v[14:15], v[42:43], v[14:15], v[58:59] op_sel:[0,0,1] op_sel_hi:[1,0,0]
	v_pk_mul_f32 v[2:3], v[52:53], v[2:3] op_sel_hi:[1,0]
	s_waitcnt vmcnt(1)
	v_pk_mul_f32 v[42:43], v[30:31], v[18:19] op_sel:[0,1]
	v_mov_b32_e32 v8, v21
	v_pk_add_f32 v[56:57], v[26:27], v[68:69]
	s_waitcnt vmcnt(0)
	v_pk_mul_f32 v[46:47], v[44:45], v[22:23] op_sel:[0,1]
	v_mov_b32_e32 v7, v9
	v_pk_fma_f32 v[58:59], v[48:49], v[12:13], v[0:1] op_sel:[0,0,1] op_sel_hi:[1,1,0] neg_lo:[0,0,1] neg_hi:[0,0,1]
	v_pk_fma_f32 v[0:1], v[48:49], v[12:13], v[0:1] op_sel:[0,0,1] op_sel_hi:[1,0,0]
	v_pk_fma_f32 v[12:13], v[52:53], v[16:17], v[2:3] op_sel:[0,0,1] op_sel_hi:[1,1,0] neg_lo:[0,0,1] neg_hi:[0,0,1]
	v_pk_fma_f32 v[2:3], v[52:53], v[16:17], v[2:3] op_sel:[0,0,1] op_sel_hi:[1,0,0]
	;; [unrolled: 2-line block ×3, first 2 shown]
	v_pk_mul_f32 v[8:9], v[50:51], v[8:9] op_sel_hi:[1,0]
	v_pk_add_f32 v[42:43], v[56:57], v[4:5]
	v_mov_b32_e32 v14, v25
	v_pk_fma_f32 v[30:31], v[44:45], v[22:23], v[46:47] op_sel:[0,0,1] op_sel_hi:[1,1,0] neg_lo:[0,0,1] neg_hi:[0,0,1]
	v_pk_fma_f32 v[22:23], v[44:45], v[22:23], v[46:47] op_sel:[0,0,1] op_sel_hi:[1,0,0]
	v_mov_b32_e32 v13, v3
	v_pk_fma_f32 v[2:3], v[50:51], v[20:21], v[8:9] op_sel:[0,0,1] op_sel_hi:[1,1,0] neg_lo:[0,0,1] neg_hi:[0,0,1]
	v_pk_fma_f32 v[8:9], v[50:51], v[20:21], v[8:9] op_sel:[0,0,1] op_sel_hi:[1,0,0]
	v_pk_add_f32 v[20:21], v[42:43], v[32:33]
	v_mov_b32_e32 v11, v15
	v_pk_mul_f32 v[14:15], v[54:55], v[14:15] op_sel_hi:[1,0]
	v_mov_b32_e32 v31, v23
	v_mov_b32_e32 v3, v9
	v_pk_add_f32 v[8:9], v[20:21], v[40:41]
	v_pk_add_f32 v[20:21], v[4:5], v[32:33]
	v_pk_add_f32 v[22:23], v[68:69], v[40:41] neg_lo:[0,1] neg_hi:[0,1]
	v_mov_b32_e32 v17, v19
	v_pk_fma_f32 v[18:19], v[54:55], v[24:25], v[14:15] op_sel:[0,0,1] op_sel_hi:[1,1,0] neg_lo:[0,0,1] neg_hi:[0,0,1]
	v_pk_fma_f32 v[14:15], v[54:55], v[24:25], v[14:15] op_sel:[0,0,1] op_sel_hi:[1,0,0]
	v_pk_fma_f32 v[20:21], v[20:21], 0.5, v[26:27] op_sel_hi:[1,0,1] neg_lo:[1,0,0] neg_hi:[1,0,0]
	v_pk_mul_f32 v[24:25], v[22:23], s[4:5] op_sel_hi:[1,0]
	v_pk_add_f32 v[42:43], v[4:5], v[32:33] neg_lo:[0,1] neg_hi:[0,1]
	v_pk_add_f32 v[46:47], v[68:69], v[4:5] neg_lo:[0,1] neg_hi:[0,1]
	;; [unrolled: 1-line block ×3, first 2 shown]
	v_mov_b32_e32 v59, v1
	v_pk_add_f32 v[0:1], v[28:29], v[6:7]
	v_pk_mul_f32 v[44:45], v[42:43], s[6:7] op_sel_hi:[1,0]
	v_pk_add_f32 v[46:47], v[46:47], v[48:49]
	v_pk_add_f32 v[48:49], v[20:21], v[24:25] op_sel:[0,1] op_sel_hi:[1,0]
	v_pk_add_f32 v[0:1], v[0:1], v[58:59]
	v_pk_add_f32 v[20:21], v[20:21], v[24:25] op_sel:[0,1] op_sel_hi:[1,0] neg_lo:[0,1] neg_hi:[0,1]
	v_pk_add_f32 v[24:25], v[48:49], v[44:45] op_sel:[0,1] op_sel_hi:[1,0]
	v_pk_add_f32 v[48:49], v[68:69], v[40:41]
	v_pk_add_f32 v[4:5], v[4:5], v[68:69] neg_lo:[0,1] neg_hi:[0,1]
	v_pk_add_f32 v[32:33], v[32:33], v[40:41] neg_lo:[0,1] neg_hi:[0,1]
	v_pk_add_f32 v[0:1], v[0:1], v[10:11]
	v_pk_fma_f32 v[26:27], v[48:49], 0.5, v[26:27] op_sel_hi:[1,0,1] neg_lo:[1,0,0] neg_hi:[1,0,0]
	v_pk_add_f32 v[4:5], v[4:5], v[32:33]
	v_pk_mul_f32 v[32:33], v[42:43], s[4:5] op_sel_hi:[1,0]
	v_pk_add_f32 v[0:1], v[0:1], v[12:13]
	v_pk_mul_f32 v[22:23], v[22:23], s[6:7] op_sel_hi:[1,0]
	v_pk_add_f32 v[40:41], v[26:27], v[32:33] op_sel:[0,1] op_sel_hi:[1,0] neg_lo:[0,1] neg_hi:[0,1]
	v_pk_add_f32 v[26:27], v[26:27], v[32:33] op_sel:[0,1] op_sel_hi:[1,0]
	v_pk_add_f32 v[20:21], v[20:21], v[44:45] op_sel:[0,1] op_sel_hi:[1,0] neg_lo:[0,1] neg_hi:[0,1]
	v_pk_add_f32 v[26:27], v[26:27], v[22:23] op_sel:[0,1] op_sel_hi:[1,0] neg_lo:[0,1] neg_hi:[0,1]
	v_pk_add_f32 v[22:23], v[40:41], v[22:23] op_sel:[0,1] op_sel_hi:[1,0]
	ds_write2_b64 v142, v[8:9], v[0:1] offset1:102
	v_pk_add_f32 v[0:1], v[58:59], v[10:11]
	v_pk_add_f32 v[8:9], v[6:7], v[12:13] neg_lo:[0,1] neg_hi:[0,1]
	v_mov_b32_e32 v44, v24
	v_mov_b32_e32 v45, v21
	;; [unrolled: 1-line block ×6, first 2 shown]
	v_pk_fma_f32 v[0:1], v[0:1], 0.5, v[28:29] op_sel_hi:[1,0,1] neg_lo:[1,0,0] neg_hi:[1,0,0]
	v_pk_mul_f32 v[22:23], v[8:9], s[4:5] op_sel_hi:[1,0]
	v_pk_add_f32 v[24:25], v[58:59], v[10:11] neg_lo:[0,1] neg_hi:[0,1]
	v_pk_add_f32 v[40:41], v[6:7], v[58:59] neg_lo:[0,1] neg_hi:[0,1]
	;; [unrolled: 1-line block ×3, first 2 shown]
	v_pk_fma_f32 v[32:33], v[4:5], s[2:3], v[32:33] op_sel_hi:[1,0,1]
	v_pk_fma_f32 v[4:5], v[4:5], s[2:3], v[26:27] op_sel_hi:[1,0,1]
	v_pk_mul_f32 v[26:27], v[24:25], s[6:7] op_sel_hi:[1,0]
	v_pk_add_f32 v[40:41], v[40:41], v[42:43]
	v_pk_add_f32 v[42:43], v[0:1], v[22:23] op_sel:[0,1] op_sel_hi:[1,0]
	v_pk_add_f32 v[0:1], v[0:1], v[22:23] op_sel:[0,1] op_sel_hi:[1,0] neg_lo:[0,1] neg_hi:[0,1]
	v_pk_add_f32 v[22:23], v[42:43], v[26:27] op_sel:[0,1] op_sel_hi:[1,0]
	v_pk_add_f32 v[0:1], v[0:1], v[26:27] op_sel:[0,1] op_sel_hi:[1,0] neg_lo:[0,1] neg_hi:[0,1]
	v_mov_b32_e32 v26, v22
	v_mov_b32_e32 v27, v1
	v_pk_fma_f32 v[44:45], v[46:47], s[2:3], v[44:45] op_sel_hi:[1,0,1]
	v_pk_fma_f32 v[26:27], v[40:41], s[2:3], v[26:27] op_sel_hi:[1,0,1]
	v_add_u32_e32 v1, 0x800, v142
	ds_write2_b64 v1, v[44:45], v[26:27] offset0:50 offset1:152
	v_pk_add_f32 v[26:27], v[6:7], v[12:13]
	v_pk_add_f32 v[6:7], v[58:59], v[6:7] neg_lo:[0,1] neg_hi:[0,1]
	v_pk_add_f32 v[10:11], v[10:11], v[12:13] neg_lo:[0,1] neg_hi:[0,1]
	v_pk_fma_f32 v[26:27], v[26:27], 0.5, v[28:29] op_sel_hi:[1,0,1] neg_lo:[1,0,0] neg_hi:[1,0,0]
	v_pk_add_f32 v[6:7], v[6:7], v[10:11]
	v_pk_mul_f32 v[10:11], v[24:25], s[4:5] op_sel_hi:[1,0]
	v_pk_mul_f32 v[8:9], v[8:9], s[6:7] op_sel_hi:[1,0]
	v_pk_add_f32 v[12:13], v[26:27], v[10:11] op_sel:[0,1] op_sel_hi:[1,0] neg_lo:[0,1] neg_hi:[0,1]
	v_pk_add_f32 v[10:11], v[26:27], v[10:11] op_sel:[0,1] op_sel_hi:[1,0]
	v_mov_b32_e32 v19, v15
	v_pk_add_f32 v[10:11], v[10:11], v[8:9] op_sel:[0,1] op_sel_hi:[1,0] neg_lo:[0,1] neg_hi:[0,1]
	v_pk_add_f32 v[8:9], v[12:13], v[8:9] op_sel:[0,1] op_sel_hi:[1,0]
	v_mov_b32_e32 v13, v11
	v_mov_b32_e32 v12, v8
	v_pk_add_f32 v[14:15], v[34:35], v[16:17]
	v_pk_fma_f32 v[12:13], v[6:7], s[2:3], v[12:13] op_sel_hi:[1,0,1]
	v_add_u32_e32 v1, 0x1000, v142
	v_mov_b32_e32 v11, v9
	v_pk_add_f32 v[14:15], v[14:15], v[2:3]
	ds_write2_b64 v1, v[32:33], v[12:13] offset0:100 offset1:202
	v_pk_fma_f32 v[6:7], v[6:7], s[2:3], v[10:11] op_sel_hi:[1,0,1]
	v_mov_b32_e32 v1, v23
	v_pk_add_f32 v[14:15], v[14:15], v[30:31]
	v_pk_fma_f32 v[20:21], v[46:47], s[2:3], v[20:21] op_sel_hi:[1,0,1]
	ds_write2_b64 v70, v[4:5], v[6:7] offset0:150 offset1:252
	v_pk_fma_f32 v[0:1], v[40:41], s[2:3], v[0:1] op_sel_hi:[1,0,1]
	v_add_u32_e32 v4, 0x2400, v142
	v_pk_add_f32 v[14:15], v[14:15], v[18:19]
	ds_write2_b64 v4, v[20:21], v[0:1] offset0:72 offset1:174
	ds_write_b64 v37, v[14:15]
	v_pk_add_f32 v[0:1], v[2:3], v[30:31]
	v_pk_add_f32 v[4:5], v[16:17], v[18:19] neg_lo:[0,1] neg_hi:[0,1]
	v_pk_fma_f32 v[0:1], v[0:1], 0.5, v[34:35] op_sel_hi:[1,0,1] neg_lo:[1,0,0] neg_hi:[1,0,0]
	v_pk_mul_f32 v[6:7], v[4:5], s[4:5] op_sel_hi:[1,0]
	v_pk_add_f32 v[8:9], v[2:3], v[30:31] neg_lo:[0,1] neg_hi:[0,1]
	v_pk_add_f32 v[12:13], v[16:17], v[2:3] neg_lo:[0,1] neg_hi:[0,1]
	;; [unrolled: 1-line block ×3, first 2 shown]
	v_pk_mul_f32 v[10:11], v[8:9], s[6:7] op_sel_hi:[1,0]
	v_pk_add_f32 v[12:13], v[12:13], v[14:15]
	v_pk_add_f32 v[14:15], v[0:1], v[6:7] op_sel:[0,1] op_sel_hi:[1,0]
	v_pk_add_f32 v[0:1], v[0:1], v[6:7] op_sel:[0,1] op_sel_hi:[1,0] neg_lo:[0,1] neg_hi:[0,1]
	v_pk_add_f32 v[6:7], v[14:15], v[10:11] op_sel:[0,1] op_sel_hi:[1,0]
	v_pk_add_f32 v[0:1], v[0:1], v[10:11] op_sel:[0,1] op_sel_hi:[1,0] neg_lo:[0,1] neg_hi:[0,1]
	v_mov_b32_e32 v10, v6
	v_mov_b32_e32 v11, v1
	v_pk_fma_f32 v[10:11], v[12:13], s[2:3], v[10:11] op_sel_hi:[1,0,1]
	ds_write_b64 v37, v[10:11] offset:2448
	v_pk_add_f32 v[10:11], v[16:17], v[18:19]
	v_pk_add_f32 v[2:3], v[2:3], v[16:17] neg_lo:[0,1] neg_hi:[0,1]
	v_pk_fma_f32 v[10:11], v[10:11], 0.5, v[34:35] op_sel_hi:[1,0,1] neg_lo:[1,0,0] neg_hi:[1,0,0]
	v_pk_add_f32 v[14:15], v[30:31], v[18:19] neg_lo:[0,1] neg_hi:[0,1]
	v_pk_mul_f32 v[8:9], v[8:9], s[4:5] op_sel_hi:[1,0]
	v_pk_add_f32 v[2:3], v[2:3], v[14:15]
	v_pk_mul_f32 v[4:5], v[4:5], s[6:7] op_sel_hi:[1,0]
	v_pk_add_f32 v[14:15], v[10:11], v[8:9] op_sel:[0,1] op_sel_hi:[1,0] neg_lo:[0,1] neg_hi:[0,1]
	v_pk_add_f32 v[8:9], v[10:11], v[8:9] op_sel:[0,1] op_sel_hi:[1,0]
	v_mov_b32_e32 v1, v7
	v_pk_add_f32 v[8:9], v[8:9], v[4:5] op_sel:[0,1] op_sel_hi:[1,0] neg_lo:[0,1] neg_hi:[0,1]
	v_pk_add_f32 v[4:5], v[14:15], v[4:5] op_sel:[0,1] op_sel_hi:[1,0]
	v_mov_b32_e32 v11, v9
	v_mov_b32_e32 v10, v4
	v_mov_b32_e32 v9, v5
	v_pk_fma_f32 v[10:11], v[2:3], s[2:3], v[10:11] op_sel_hi:[1,0,1]
	v_pk_fma_f32 v[2:3], v[2:3], s[2:3], v[8:9] op_sel_hi:[1,0,1]
	;; [unrolled: 1-line block ×3, first 2 shown]
	ds_write_b64 v37, v[10:11] offset:4896
	ds_write_b64 v37, v[2:3] offset:7344
	ds_write_b64 v37, v[0:1] offset:9792
	s_waitcnt lgkmcnt(0)
	s_barrier
	s_and_saveexec_b64 s[2:3], s[0:1]
	s_cbranch_execz .LBB0_27
; %bb.26:
	v_lshl_add_u32 v8, v36, 3, 0
	ds_read2_b64 v[0:3], v8 offset1:102
	v_mov_b32_e32 v37, 0
	v_add_u32_e32 v4, 0x66, v36
	v_lshl_add_u64 v[6:7], v[36:37], 3, v[38:39]
	v_mov_b32_e32 v5, v37
	s_waitcnt lgkmcnt(0)
	global_store_dwordx2 v[6:7], v[0:1], off
	v_lshl_add_u64 v[0:1], v[4:5], 3, v[38:39]
	v_add_u32_e32 v4, 0x400, v8
	ds_read2_b64 v[4:7], v4 offset0:76 offset1:178
	global_store_dwordx2 v[0:1], v[2:3], off
	v_add_u32_e32 v0, 0xcc, v36
	v_mov_b32_e32 v1, v37
	v_lshl_add_u64 v[0:1], v[0:1], 3, v[38:39]
	s_waitcnt lgkmcnt(0)
	global_store_dwordx2 v[0:1], v[4:5], off
	v_add_u32_e32 v0, 0x132, v36
	v_mov_b32_e32 v1, v37
	v_lshl_add_u64 v[4:5], v[0:1], 3, v[38:39]
	v_add_u32_e32 v0, 0x800, v8
	ds_read2_b64 v[0:3], v0 offset0:152 offset1:254
	global_store_dwordx2 v[4:5], v[6:7], off
	v_add_u32_e32 v4, 0x198, v36
	v_mov_b32_e32 v5, v37
	v_lshl_add_u64 v[4:5], v[4:5], 3, v[38:39]
	s_waitcnt lgkmcnt(0)
	global_store_dwordx2 v[4:5], v[0:1], off
	v_add_u32_e32 v4, 0x1000, v8
	ds_read2_b64 v[4:7], v4 offset0:100 offset1:202
	v_add_u32_e32 v0, 0x1fe, v36
	v_mov_b32_e32 v1, v37
	v_lshl_add_u64 v[0:1], v[0:1], 3, v[38:39]
	global_store_dwordx2 v[0:1], v[2:3], off
	v_add_u32_e32 v0, 0x264, v36
	v_mov_b32_e32 v1, v37
	v_lshl_add_u64 v[0:1], v[0:1], 3, v[38:39]
	s_waitcnt lgkmcnt(0)
	global_store_dwordx2 v[0:1], v[4:5], off
	v_add_u32_e32 v0, 0x2ca, v36
	v_mov_b32_e32 v1, v37
	v_lshl_add_u64 v[4:5], v[0:1], 3, v[38:39]
	v_add_u32_e32 v0, 0x1800, v8
	ds_read2_b64 v[0:3], v0 offset0:48 offset1:150
	global_store_dwordx2 v[4:5], v[6:7], off
	v_add_u32_e32 v4, 0x330, v36
	v_mov_b32_e32 v5, v37
	v_lshl_add_u64 v[4:5], v[4:5], 3, v[38:39]
	s_waitcnt lgkmcnt(0)
	global_store_dwordx2 v[4:5], v[0:1], off
	v_add_u32_e32 v4, 0x1c00, v8
	ds_read2_b64 v[4:7], v4 offset0:124 offset1:226
	v_add_u32_e32 v0, 0x396, v36
	v_mov_b32_e32 v1, v37
	v_lshl_add_u64 v[0:1], v[0:1], 3, v[38:39]
	global_store_dwordx2 v[0:1], v[2:3], off
	v_add_u32_e32 v0, 0x3fc, v36
	v_mov_b32_e32 v1, v37
	v_lshl_add_u64 v[0:1], v[0:1], 3, v[38:39]
	s_waitcnt lgkmcnt(0)
	global_store_dwordx2 v[0:1], v[4:5], off
	v_add_u32_e32 v0, 0x462, v36
	v_mov_b32_e32 v1, v37
	v_lshl_add_u64 v[4:5], v[0:1], 3, v[38:39]
	v_add_u32_e32 v0, 0x2400, v8
	ds_read2_b64 v[0:3], v0 offset0:72 offset1:174
	global_store_dwordx2 v[4:5], v[6:7], off
	v_add_u32_e32 v4, 0x4c8, v36
	v_mov_b32_e32 v5, v37
	v_lshl_add_u64 v[4:5], v[4:5], 3, v[38:39]
	s_waitcnt lgkmcnt(0)
	global_store_dwordx2 v[4:5], v[0:1], off
	ds_read_b64 v[4:5], v8 offset:11424
	v_add_u32_e32 v0, 0x52e, v36
	v_mov_b32_e32 v1, v37
	v_lshl_add_u64 v[0:1], v[0:1], 3, v[38:39]
	v_add_u32_e32 v36, 0x594, v36
	global_store_dwordx2 v[0:1], v[2:3], off
	v_lshl_add_u64 v[0:1], v[36:37], 3, v[38:39]
	s_waitcnt lgkmcnt(0)
	global_store_dwordx2 v[0:1], v[4:5], off
.LBB0_27:
	s_endpgm
	.section	.rodata,"a",@progbits
	.p2align	6, 0x0
	.amdhsa_kernel fft_rtc_fwd_len1530_factors_17_3_6_5_wgs_102_tpt_102_halfLds_sp_ip_CI_unitstride_sbrr_C2R_dirReg
		.amdhsa_group_segment_fixed_size 0
		.amdhsa_private_segment_fixed_size 0
		.amdhsa_kernarg_size 88
		.amdhsa_user_sgpr_count 2
		.amdhsa_user_sgpr_dispatch_ptr 0
		.amdhsa_user_sgpr_queue_ptr 0
		.amdhsa_user_sgpr_kernarg_segment_ptr 1
		.amdhsa_user_sgpr_dispatch_id 0
		.amdhsa_user_sgpr_kernarg_preload_length 0
		.amdhsa_user_sgpr_kernarg_preload_offset 0
		.amdhsa_user_sgpr_private_segment_size 0
		.amdhsa_uses_dynamic_stack 0
		.amdhsa_enable_private_segment 0
		.amdhsa_system_sgpr_workgroup_id_x 1
		.amdhsa_system_sgpr_workgroup_id_y 0
		.amdhsa_system_sgpr_workgroup_id_z 0
		.amdhsa_system_sgpr_workgroup_info 0
		.amdhsa_system_vgpr_workitem_id 0
		.amdhsa_next_free_vgpr 218
		.amdhsa_next_free_sgpr 56
		.amdhsa_accum_offset 220
		.amdhsa_reserve_vcc 1
		.amdhsa_float_round_mode_32 0
		.amdhsa_float_round_mode_16_64 0
		.amdhsa_float_denorm_mode_32 3
		.amdhsa_float_denorm_mode_16_64 3
		.amdhsa_dx10_clamp 1
		.amdhsa_ieee_mode 1
		.amdhsa_fp16_overflow 0
		.amdhsa_tg_split 0
		.amdhsa_exception_fp_ieee_invalid_op 0
		.amdhsa_exception_fp_denorm_src 0
		.amdhsa_exception_fp_ieee_div_zero 0
		.amdhsa_exception_fp_ieee_overflow 0
		.amdhsa_exception_fp_ieee_underflow 0
		.amdhsa_exception_fp_ieee_inexact 0
		.amdhsa_exception_int_div_zero 0
	.end_amdhsa_kernel
	.text
.Lfunc_end0:
	.size	fft_rtc_fwd_len1530_factors_17_3_6_5_wgs_102_tpt_102_halfLds_sp_ip_CI_unitstride_sbrr_C2R_dirReg, .Lfunc_end0-fft_rtc_fwd_len1530_factors_17_3_6_5_wgs_102_tpt_102_halfLds_sp_ip_CI_unitstride_sbrr_C2R_dirReg
                                        ; -- End function
	.section	.AMDGPU.csdata,"",@progbits
; Kernel info:
; codeLenInByte = 12064
; NumSgprs: 62
; NumVgprs: 218
; NumAgprs: 0
; TotalNumVgprs: 218
; ScratchSize: 0
; MemoryBound: 0
; FloatMode: 240
; IeeeMode: 1
; LDSByteSize: 0 bytes/workgroup (compile time only)
; SGPRBlocks: 7
; VGPRBlocks: 27
; NumSGPRsForWavesPerEU: 62
; NumVGPRsForWavesPerEU: 218
; AccumOffset: 220
; Occupancy: 2
; WaveLimiterHint : 1
; COMPUTE_PGM_RSRC2:SCRATCH_EN: 0
; COMPUTE_PGM_RSRC2:USER_SGPR: 2
; COMPUTE_PGM_RSRC2:TRAP_HANDLER: 0
; COMPUTE_PGM_RSRC2:TGID_X_EN: 1
; COMPUTE_PGM_RSRC2:TGID_Y_EN: 0
; COMPUTE_PGM_RSRC2:TGID_Z_EN: 0
; COMPUTE_PGM_RSRC2:TIDIG_COMP_CNT: 0
; COMPUTE_PGM_RSRC3_GFX90A:ACCUM_OFFSET: 54
; COMPUTE_PGM_RSRC3_GFX90A:TG_SPLIT: 0
	.text
	.p2alignl 6, 3212836864
	.fill 256, 4, 3212836864
	.type	__hip_cuid_159093d9d3192bc7,@object ; @__hip_cuid_159093d9d3192bc7
	.section	.bss,"aw",@nobits
	.globl	__hip_cuid_159093d9d3192bc7
__hip_cuid_159093d9d3192bc7:
	.byte	0                               ; 0x0
	.size	__hip_cuid_159093d9d3192bc7, 1

	.ident	"AMD clang version 19.0.0git (https://github.com/RadeonOpenCompute/llvm-project roc-6.4.0 25133 c7fe45cf4b819c5991fe208aaa96edf142730f1d)"
	.section	".note.GNU-stack","",@progbits
	.addrsig
	.addrsig_sym __hip_cuid_159093d9d3192bc7
	.amdgpu_metadata
---
amdhsa.kernels:
  - .agpr_count:     0
    .args:
      - .actual_access:  read_only
        .address_space:  global
        .offset:         0
        .size:           8
        .value_kind:     global_buffer
      - .offset:         8
        .size:           8
        .value_kind:     by_value
      - .actual_access:  read_only
        .address_space:  global
        .offset:         16
        .size:           8
        .value_kind:     global_buffer
      - .actual_access:  read_only
        .address_space:  global
        .offset:         24
        .size:           8
        .value_kind:     global_buffer
      - .offset:         32
        .size:           8
        .value_kind:     by_value
      - .actual_access:  read_only
        .address_space:  global
        .offset:         40
        .size:           8
        .value_kind:     global_buffer
      - .actual_access:  read_only
        .address_space:  global
        .offset:         48
        .size:           8
        .value_kind:     global_buffer
      - .offset:         56
        .size:           4
        .value_kind:     by_value
      - .actual_access:  read_only
        .address_space:  global
        .offset:         64
        .size:           8
        .value_kind:     global_buffer
      - .actual_access:  read_only
        .address_space:  global
        .offset:         72
        .size:           8
        .value_kind:     global_buffer
      - .address_space:  global
        .offset:         80
        .size:           8
        .value_kind:     global_buffer
    .group_segment_fixed_size: 0
    .kernarg_segment_align: 8
    .kernarg_segment_size: 88
    .language:       OpenCL C
    .language_version:
      - 2
      - 0
    .max_flat_workgroup_size: 102
    .name:           fft_rtc_fwd_len1530_factors_17_3_6_5_wgs_102_tpt_102_halfLds_sp_ip_CI_unitstride_sbrr_C2R_dirReg
    .private_segment_fixed_size: 0
    .sgpr_count:     62
    .sgpr_spill_count: 0
    .symbol:         fft_rtc_fwd_len1530_factors_17_3_6_5_wgs_102_tpt_102_halfLds_sp_ip_CI_unitstride_sbrr_C2R_dirReg.kd
    .uniform_work_group_size: 1
    .uses_dynamic_stack: false
    .vgpr_count:     218
    .vgpr_spill_count: 0
    .wavefront_size: 64
amdhsa.target:   amdgcn-amd-amdhsa--gfx950
amdhsa.version:
  - 1
  - 2
...

	.end_amdgpu_metadata
